;; amdgpu-corpus repo=ROCm/rocFFT kind=compiled arch=gfx906 opt=O3
	.text
	.amdgcn_target "amdgcn-amd-amdhsa--gfx906"
	.amdhsa_code_object_version 6
	.protected	fft_rtc_fwd_len578_factors_17_17_2_wgs_238_tpt_34_halfLds_sp_ip_CI_sbrr_dirReg ; -- Begin function fft_rtc_fwd_len578_factors_17_17_2_wgs_238_tpt_34_halfLds_sp_ip_CI_sbrr_dirReg
	.globl	fft_rtc_fwd_len578_factors_17_17_2_wgs_238_tpt_34_halfLds_sp_ip_CI_sbrr_dirReg
	.p2align	8
	.type	fft_rtc_fwd_len578_factors_17_17_2_wgs_238_tpt_34_halfLds_sp_ip_CI_sbrr_dirReg,@function
fft_rtc_fwd_len578_factors_17_17_2_wgs_238_tpt_34_halfLds_sp_ip_CI_sbrr_dirReg: ; @fft_rtc_fwd_len578_factors_17_17_2_wgs_238_tpt_34_halfLds_sp_ip_CI_sbrr_dirReg
; %bb.0:
	s_load_dwordx2 s[2:3], s[4:5], 0x18
	s_load_dwordx4 s[8:11], s[4:5], 0x0
	s_load_dwordx2 s[14:15], s[4:5], 0x50
	v_mul_u32_u24_e32 v1, 0x788, v0
	v_lshrrev_b32_e32 v1, 16, v1
	s_waitcnt lgkmcnt(0)
	s_load_dwordx2 s[12:13], s[2:3], 0x0
	v_mad_u64_u32 v[2:3], s[0:1], s6, 7, v[1:2]
	v_mov_b32_e32 v6, 0
	v_cmp_lt_u64_e64 s[0:1], s[10:11], 2
	v_mov_b32_e32 v3, v6
	v_mov_b32_e32 v4, 0
	;; [unrolled: 1-line block ×3, first 2 shown]
	s_and_b64 vcc, exec, s[0:1]
	v_mov_b32_e32 v5, 0
	v_mov_b32_e32 v10, v2
	s_cbranch_vccnz .LBB0_8
; %bb.1:
	s_load_dwordx2 s[0:1], s[4:5], 0x10
	s_add_u32 s6, s2, 8
	s_addc_u32 s7, s3, 0
	v_mov_b32_e32 v4, 0
	v_mov_b32_e32 v9, v3
	s_waitcnt lgkmcnt(0)
	s_add_u32 s18, s0, 8
	s_mov_b64 s[16:17], 1
	v_mov_b32_e32 v5, 0
	s_addc_u32 s19, s1, 0
	v_mov_b32_e32 v8, v2
.LBB0_2:                                ; =>This Inner Loop Header: Depth=1
	s_load_dwordx2 s[20:21], s[18:19], 0x0
                                        ; implicit-def: $vgpr10_vgpr11
	s_waitcnt lgkmcnt(0)
	v_or_b32_e32 v7, s21, v9
	v_cmp_ne_u64_e32 vcc, 0, v[6:7]
	s_and_saveexec_b64 s[0:1], vcc
	s_xor_b64 s[22:23], exec, s[0:1]
	s_cbranch_execz .LBB0_4
; %bb.3:                                ;   in Loop: Header=BB0_2 Depth=1
	v_cvt_f32_u32_e32 v1, s20
	v_cvt_f32_u32_e32 v3, s21
	s_sub_u32 s0, 0, s20
	s_subb_u32 s1, 0, s21
	v_mac_f32_e32 v1, 0x4f800000, v3
	v_rcp_f32_e32 v1, v1
	v_mul_f32_e32 v1, 0x5f7ffffc, v1
	v_mul_f32_e32 v3, 0x2f800000, v1
	v_trunc_f32_e32 v3, v3
	v_mac_f32_e32 v1, 0xcf800000, v3
	v_cvt_u32_f32_e32 v3, v3
	v_cvt_u32_f32_e32 v1, v1
	v_mul_lo_u32 v7, s0, v3
	v_mul_hi_u32 v10, s0, v1
	v_mul_lo_u32 v12, s1, v1
	v_mul_lo_u32 v11, s0, v1
	v_add_u32_e32 v7, v10, v7
	v_add_u32_e32 v7, v7, v12
	v_mul_hi_u32 v10, v1, v11
	v_mul_lo_u32 v12, v1, v7
	v_mul_hi_u32 v14, v1, v7
	v_mul_hi_u32 v13, v3, v11
	v_mul_lo_u32 v11, v3, v11
	v_mul_hi_u32 v15, v3, v7
	v_add_co_u32_e32 v10, vcc, v10, v12
	v_addc_co_u32_e32 v12, vcc, 0, v14, vcc
	v_mul_lo_u32 v7, v3, v7
	v_add_co_u32_e32 v10, vcc, v10, v11
	v_addc_co_u32_e32 v10, vcc, v12, v13, vcc
	v_addc_co_u32_e32 v11, vcc, 0, v15, vcc
	v_add_co_u32_e32 v7, vcc, v10, v7
	v_addc_co_u32_e32 v10, vcc, 0, v11, vcc
	v_add_co_u32_e32 v1, vcc, v1, v7
	v_addc_co_u32_e32 v3, vcc, v3, v10, vcc
	v_mul_lo_u32 v7, s0, v3
	v_mul_hi_u32 v10, s0, v1
	v_mul_lo_u32 v11, s1, v1
	v_mul_lo_u32 v12, s0, v1
	v_add_u32_e32 v7, v10, v7
	v_add_u32_e32 v7, v7, v11
	v_mul_lo_u32 v13, v1, v7
	v_mul_hi_u32 v14, v1, v12
	v_mul_hi_u32 v15, v1, v7
	;; [unrolled: 1-line block ×3, first 2 shown]
	v_mul_lo_u32 v12, v3, v12
	v_mul_hi_u32 v10, v3, v7
	v_add_co_u32_e32 v13, vcc, v14, v13
	v_addc_co_u32_e32 v14, vcc, 0, v15, vcc
	v_mul_lo_u32 v7, v3, v7
	v_add_co_u32_e32 v12, vcc, v13, v12
	v_addc_co_u32_e32 v11, vcc, v14, v11, vcc
	v_addc_co_u32_e32 v10, vcc, 0, v10, vcc
	v_add_co_u32_e32 v7, vcc, v11, v7
	v_addc_co_u32_e32 v10, vcc, 0, v10, vcc
	v_add_co_u32_e32 v1, vcc, v1, v7
	v_addc_co_u32_e32 v3, vcc, v3, v10, vcc
	v_mad_u64_u32 v[10:11], s[0:1], v8, v3, 0
	v_mul_hi_u32 v7, v8, v1
	v_mad_u64_u32 v[12:13], s[0:1], v9, v3, 0
	v_add_co_u32_e32 v7, vcc, v7, v10
	v_addc_co_u32_e32 v14, vcc, 0, v11, vcc
	v_mad_u64_u32 v[10:11], s[0:1], v9, v1, 0
	v_add_co_u32_e32 v1, vcc, v7, v10
	v_addc_co_u32_e32 v1, vcc, v14, v11, vcc
	v_addc_co_u32_e32 v3, vcc, 0, v13, vcc
	v_add_co_u32_e32 v1, vcc, v1, v12
	v_addc_co_u32_e32 v3, vcc, 0, v3, vcc
	v_mul_lo_u32 v7, s21, v1
	v_mul_lo_u32 v12, s20, v3
	v_mad_u64_u32 v[10:11], s[0:1], s20, v1, 0
	v_add3_u32 v7, v11, v12, v7
	v_sub_u32_e32 v11, v9, v7
	v_mov_b32_e32 v12, s21
	v_sub_co_u32_e32 v10, vcc, v8, v10
	v_subb_co_u32_e64 v11, s[0:1], v11, v12, vcc
	v_subrev_co_u32_e64 v12, s[0:1], s20, v10
	v_subbrev_co_u32_e64 v11, s[0:1], 0, v11, s[0:1]
	v_cmp_le_u32_e64 s[0:1], s21, v11
	v_cndmask_b32_e64 v13, 0, -1, s[0:1]
	v_cmp_le_u32_e64 s[0:1], s20, v12
	v_cndmask_b32_e64 v12, 0, -1, s[0:1]
	v_cmp_eq_u32_e64 s[0:1], s21, v11
	v_cndmask_b32_e64 v11, v13, v12, s[0:1]
	v_add_co_u32_e64 v12, s[0:1], 2, v1
	v_addc_co_u32_e64 v13, s[0:1], 0, v3, s[0:1]
	v_add_co_u32_e64 v14, s[0:1], 1, v1
	v_addc_co_u32_e64 v15, s[0:1], 0, v3, s[0:1]
	v_subb_co_u32_e32 v7, vcc, v9, v7, vcc
	v_cmp_ne_u32_e64 s[0:1], 0, v11
	v_cmp_le_u32_e32 vcc, s21, v7
	v_cndmask_b32_e64 v11, v15, v13, s[0:1]
	v_cndmask_b32_e64 v13, 0, -1, vcc
	v_cmp_le_u32_e32 vcc, s20, v10
	v_cndmask_b32_e64 v10, 0, -1, vcc
	v_cmp_eq_u32_e32 vcc, s21, v7
	v_cndmask_b32_e32 v7, v13, v10, vcc
	v_cmp_ne_u32_e32 vcc, 0, v7
	v_cndmask_b32_e32 v11, v3, v11, vcc
	v_cndmask_b32_e64 v3, v14, v12, s[0:1]
	v_cndmask_b32_e32 v10, v1, v3, vcc
.LBB0_4:                                ;   in Loop: Header=BB0_2 Depth=1
	s_andn2_saveexec_b64 s[0:1], s[22:23]
	s_cbranch_execz .LBB0_6
; %bb.5:                                ;   in Loop: Header=BB0_2 Depth=1
	v_cvt_f32_u32_e32 v1, s20
	s_sub_i32 s22, 0, s20
	v_mov_b32_e32 v11, v6
	v_rcp_iflag_f32_e32 v1, v1
	v_mul_f32_e32 v1, 0x4f7ffffe, v1
	v_cvt_u32_f32_e32 v1, v1
	v_mul_lo_u32 v3, s22, v1
	v_mul_hi_u32 v3, v1, v3
	v_add_u32_e32 v1, v1, v3
	v_mul_hi_u32 v1, v8, v1
	v_mul_lo_u32 v3, v1, s20
	v_add_u32_e32 v7, 1, v1
	v_sub_u32_e32 v3, v8, v3
	v_subrev_u32_e32 v10, s20, v3
	v_cmp_le_u32_e32 vcc, s20, v3
	v_cndmask_b32_e32 v3, v3, v10, vcc
	v_cndmask_b32_e32 v1, v1, v7, vcc
	v_add_u32_e32 v7, 1, v1
	v_cmp_le_u32_e32 vcc, s20, v3
	v_cndmask_b32_e32 v10, v1, v7, vcc
.LBB0_6:                                ;   in Loop: Header=BB0_2 Depth=1
	s_or_b64 exec, exec, s[0:1]
	v_mul_lo_u32 v1, v11, s20
	v_mul_lo_u32 v3, v10, s21
	v_mad_u64_u32 v[12:13], s[0:1], v10, s20, 0
	s_load_dwordx2 s[0:1], s[6:7], 0x0
	s_add_u32 s16, s16, 1
	v_add3_u32 v1, v13, v3, v1
	v_sub_co_u32_e32 v3, vcc, v8, v12
	v_subb_co_u32_e32 v1, vcc, v9, v1, vcc
	s_waitcnt lgkmcnt(0)
	v_mul_lo_u32 v1, s0, v1
	v_mul_lo_u32 v7, s1, v3
	v_mad_u64_u32 v[4:5], s[0:1], s0, v3, v[4:5]
	s_addc_u32 s17, s17, 0
	s_add_u32 s6, s6, 8
	v_add3_u32 v5, v7, v5, v1
	v_mov_b32_e32 v7, s10
	v_mov_b32_e32 v8, s11
	s_addc_u32 s7, s7, 0
	v_cmp_ge_u64_e32 vcc, s[16:17], v[7:8]
	s_add_u32 s18, s18, 8
	s_addc_u32 s19, s19, 0
	s_cbranch_vccnz .LBB0_8
; %bb.7:                                ;   in Loop: Header=BB0_2 Depth=1
	v_mov_b32_e32 v8, v10
	v_mov_b32_e32 v9, v11
	s_branch .LBB0_2
.LBB0_8:
	s_lshl_b64 s[0:1], s[10:11], 3
	s_add_u32 s0, s2, s0
	s_addc_u32 s1, s3, s1
	s_load_dwordx2 s[2:3], s[0:1], 0x0
	s_load_dwordx2 s[6:7], s[4:5], 0x20
                                        ; implicit-def: $sgpr4_sgpr5
                                        ; implicit-def: $vgpr7
                                        ; implicit-def: $vgpr8
                                        ; implicit-def: $vgpr9
	s_waitcnt lgkmcnt(0)
	v_mad_u64_u32 v[3:4], s[0:1], s2, v10, v[4:5]
	s_mov_b32 s0, 0x7878788
	v_mul_lo_u32 v1, s2, v11
	v_mul_lo_u32 v6, s3, v10
	v_mul_hi_u32 v5, v0, s0
	v_cmp_gt_u64_e32 vcc, s[6:7], v[10:11]
	v_cmp_le_u64_e64 s[0:1], s[6:7], v[10:11]
	v_add3_u32 v4, v6, v4, v1
	v_mul_u32_u24_e32 v1, 34, v5
	v_sub_u32_e32 v0, v0, v1
	v_add_u32_e32 v46, 34, v0
                                        ; implicit-def: $vgpr11
                                        ; implicit-def: $vgpr5
                                        ; implicit-def: $vgpr6
                                        ; implicit-def: $vgpr1
                                        ; implicit-def: $vgpr10
	s_and_saveexec_b64 s[2:3], s[0:1]
	s_xor_b64 s[0:1], exec, s[2:3]
; %bb.9:
	v_add_u32_e32 v11, 34, v0
	v_add_u32_e32 v5, 0x44, v0
	;; [unrolled: 1-line block ×8, first 2 shown]
	s_mov_b64 s[4:5], 0
; %bb.10:
	s_or_saveexec_b64 s[2:3], s[0:1]
	v_lshlrev_b64 v[3:4], 3, v[3:4]
	v_mov_b32_e32 v41, s5
	v_mov_b32_e32 v40, s4
                                        ; implicit-def: $vgpr43
                                        ; implicit-def: $vgpr37
                                        ; implicit-def: $vgpr33
                                        ; implicit-def: $vgpr29
                                        ; implicit-def: $vgpr25
                                        ; implicit-def: $vgpr21
                                        ; implicit-def: $vgpr17
                                        ; implicit-def: $vgpr13
                                        ; implicit-def: $vgpr19
                                        ; implicit-def: $vgpr27
                                        ; implicit-def: $vgpr35
                                        ; implicit-def: $vgpr45
                                        ; implicit-def: $vgpr39
                                        ; implicit-def: $vgpr31
                                        ; implicit-def: $vgpr23
                                        ; implicit-def: $vgpr15
	s_xor_b64 exec, exec, s[2:3]
	s_cbranch_execz .LBB0_12
; %bb.11:
	v_mad_u64_u32 v[5:6], s[0:1], s12, v0, 0
	v_mov_b32_e32 v1, v6
	v_mad_u64_u32 v[6:7], s[0:1], s13, v0, v[1:2]
	v_mad_u64_u32 v[7:8], s[0:1], s12, v46, 0
	v_mov_b32_e32 v1, s15
	v_add_co_u32_e64 v19, s[0:1], s14, v3
	v_addc_co_u32_e64 v20, s[0:1], v1, v4, s[0:1]
	v_mov_b32_e32 v1, v8
	v_lshlrev_b64 v[9:10], 3, v[5:6]
	v_mad_u64_u32 v[11:12], s[0:1], s13, v46, v[1:2]
	v_add_u32_e32 v5, 0x44, v0
	v_mad_u64_u32 v[12:13], s[0:1], s12, v5, 0
	v_add_co_u32_e64 v38, s[0:1], v19, v9
	v_mov_b32_e32 v1, v13
	v_addc_co_u32_e64 v39, s[0:1], v20, v10, s[0:1]
	v_mad_u64_u32 v[9:10], s[0:1], s13, v5, v[1:2]
	v_add_u32_e32 v6, 0x66, v0
	v_mov_b32_e32 v8, v11
	v_mad_u64_u32 v[10:11], s[0:1], s12, v6, 0
	v_lshlrev_b64 v[7:8], 3, v[7:8]
	v_mov_b32_e32 v13, v9
	v_add_co_u32_e64 v44, s[0:1], v19, v7
	v_mov_b32_e32 v1, v11
	v_addc_co_u32_e64 v45, s[0:1], v20, v8, s[0:1]
	v_lshlrev_b64 v[8:9], 3, v[12:13]
	v_mad_u64_u32 v[11:12], s[0:1], s13, v6, v[1:2]
	v_add_u32_e32 v7, 0x88, v0
	v_mad_u64_u32 v[12:13], s[0:1], s12, v7, 0
	v_add_co_u32_e64 v47, s[0:1], v19, v8
	v_mov_b32_e32 v1, v13
	v_addc_co_u32_e64 v48, s[0:1], v20, v9, s[0:1]
	v_mad_u64_u32 v[13:14], s[0:1], s13, v7, v[1:2]
	v_add_u32_e32 v8, 0xaa, v0
	v_mad_u64_u32 v[14:15], s[0:1], s12, v8, 0
	v_lshlrev_b64 v[9:10], 3, v[10:11]
	v_add_co_u32_e64 v49, s[0:1], v19, v9
	v_add_u32_e32 v9, 0xcc, v0
	v_addc_co_u32_e64 v50, s[0:1], v20, v10, s[0:1]
	v_mov_b32_e32 v1, v15
	v_mad_u64_u32 v[16:17], s[0:1], s12, v9, 0
	v_lshlrev_b64 v[10:11], 3, v[12:13]
	v_mad_u64_u32 v[12:13], s[0:1], s13, v8, v[1:2]
	v_add_co_u32_e64 v51, s[0:1], v19, v10
	v_mov_b32_e32 v1, v17
	v_addc_co_u32_e64 v52, s[0:1], v20, v11, s[0:1]
	v_mov_b32_e32 v15, v12
	v_mad_u64_u32 v[12:13], s[0:1], s13, v9, v[1:2]
	v_add_u32_e32 v1, 0xee, v0
	v_lshlrev_b64 v[10:11], 3, v[14:15]
	v_mad_u64_u32 v[13:14], s[0:1], s12, v1, 0
	v_add_co_u32_e64 v53, s[0:1], v19, v10
	v_mov_b32_e32 v17, v12
	v_addc_co_u32_e64 v54, s[0:1], v20, v11, s[0:1]
	v_lshlrev_b64 v[11:12], 3, v[16:17]
	v_mov_b32_e32 v10, v14
	v_mad_u64_u32 v[14:15], s[0:1], s13, v1, v[10:11]
	v_add_u32_e32 v10, 0x110, v0
	v_mad_u64_u32 v[15:16], s[0:1], s12, v10, 0
	v_add_co_u32_e64 v55, s[0:1], v19, v11
	v_addc_co_u32_e64 v56, s[0:1], v20, v12, s[0:1]
	v_lshlrev_b64 v[11:12], 3, v[13:14]
	v_mov_b32_e32 v13, v16
	v_mad_u64_u32 v[13:14], s[0:1], s13, v10, v[13:14]
	v_add_u32_e32 v14, 0x132, v0
	v_mad_u64_u32 v[17:18], s[0:1], s12, v14, 0
	v_add_co_u32_e64 v57, s[0:1], v19, v11
	v_mov_b32_e32 v16, v13
	v_mov_b32_e32 v13, v18
	v_addc_co_u32_e64 v58, s[0:1], v20, v12, s[0:1]
	v_lshlrev_b64 v[11:12], 3, v[15:16]
	v_mad_u64_u32 v[13:14], s[0:1], s13, v14, v[13:14]
	v_add_u32_e32 v16, 0x154, v0
	v_mad_u64_u32 v[14:15], s[0:1], s12, v16, 0
	v_add_co_u32_e64 v59, s[0:1], v19, v11
	v_mov_b32_e32 v18, v13
	v_mov_b32_e32 v13, v15
	v_addc_co_u32_e64 v60, s[0:1], v20, v12, s[0:1]
	v_lshlrev_b64 v[11:12], 3, v[17:18]
	v_mad_u64_u32 v[15:16], s[0:1], s13, v16, v[13:14]
	v_add_u32_e32 v18, 0x176, v0
	v_mad_u64_u32 v[16:17], s[0:1], s12, v18, 0
	v_add_co_u32_e64 v61, s[0:1], v19, v11
	v_mov_b32_e32 v13, v17
	v_addc_co_u32_e64 v62, s[0:1], v20, v12, s[0:1]
	v_lshlrev_b64 v[11:12], 3, v[14:15]
	v_mad_u64_u32 v[13:14], s[0:1], s13, v18, v[13:14]
	v_add_u32_e32 v18, 0x198, v0
	v_mad_u64_u32 v[14:15], s[0:1], s12, v18, 0
	v_add_co_u32_e64 v63, s[0:1], v19, v11
	v_mov_b32_e32 v17, v13
	v_mov_b32_e32 v13, v15
	v_addc_co_u32_e64 v64, s[0:1], v20, v12, s[0:1]
	v_lshlrev_b64 v[11:12], 3, v[16:17]
	v_mad_u64_u32 v[15:16], s[0:1], s13, v18, v[13:14]
	v_add_u32_e32 v18, 0x1ba, v0
	v_mad_u64_u32 v[16:17], s[0:1], s12, v18, 0
	v_add_co_u32_e64 v65, s[0:1], v19, v11
	;; [unrolled: 15-line block ×3, first 2 shown]
	v_mov_b32_e32 v13, v17
	v_addc_co_u32_e64 v70, s[0:1], v20, v12, s[0:1]
	v_lshlrev_b64 v[11:12], 3, v[14:15]
	v_mad_u64_u32 v[13:14], s[0:1], s13, v18, v[13:14]
	v_add_u32_e32 v18, 0x220, v0
	v_mad_u64_u32 v[14:15], s[0:1], s12, v18, 0
	v_add_co_u32_e64 v71, s[0:1], v19, v11
	v_mov_b32_e32 v17, v13
	v_mov_b32_e32 v13, v15
	v_addc_co_u32_e64 v72, s[0:1], v20, v12, s[0:1]
	v_lshlrev_b64 v[11:12], 3, v[16:17]
	v_mad_u64_u32 v[15:16], s[0:1], s13, v18, v[13:14]
	v_add_co_u32_e64 v73, s[0:1], v19, v11
	v_addc_co_u32_e64 v74, s[0:1], v20, v12, s[0:1]
	v_lshlrev_b64 v[11:12], 3, v[14:15]
	v_add_co_u32_e64 v75, s[0:1], v19, v11
	v_addc_co_u32_e64 v76, s[0:1], v20, v12, s[0:1]
	global_load_dwordx2 v[40:41], v[38:39], off
	global_load_dwordx2 v[42:43], v[44:45], off
	;; [unrolled: 1-line block ×15, first 2 shown]
                                        ; kill: killed $vgpr69 killed $vgpr70
                                        ; kill: killed $vgpr47 killed $vgpr48
                                        ; kill: killed $vgpr59 killed $vgpr60
                                        ; kill: killed $vgpr38 killed $vgpr39
                                        ; kill: killed $vgpr49 killed $vgpr50
                                        ; kill: killed $vgpr63 killed $vgpr64
                                        ; kill: killed $vgpr51 killed $vgpr52
                                        ; kill: killed $vgpr67 killed $vgpr68
                                        ; kill: killed $vgpr53 killed $vgpr54
                                        ; kill: killed $vgpr71 killed $vgpr72
                                        ; kill: killed $vgpr61 killed $vgpr62
                                        ; kill: killed $vgpr55 killed $vgpr56
                                        ; kill: killed $vgpr65 killed $vgpr66
                                        ; kill: killed $vgpr44 killed $vgpr45
                                        ; kill: killed $vgpr57 killed $vgpr58
	global_load_dwordx2 v[38:39], v[73:74], off
	global_load_dwordx2 v[44:45], v[75:76], off
	v_mov_b32_e32 v11, v46
.LBB0_12:
	s_or_b64 exec, exec, s[2:3]
	s_mov_b32 s0, 0x24924925
	v_mul_hi_u32 v47, v2, s0
	s_waitcnt vmcnt(15)
	v_add_f32_e32 v48, v42, v40
	v_add_f32_e32 v49, v43, v41
	s_waitcnt vmcnt(14)
	v_add_f32_e32 v48, v36, v48
	v_sub_u32_e32 v50, v2, v47
	v_lshrrev_b32_e32 v50, 1, v50
	v_add_u32_e32 v47, v50, v47
	v_lshrrev_b32_e32 v47, 2, v47
	v_mul_lo_u32 v47, v47, 7
	v_add_f32_e32 v49, v37, v49
	s_waitcnt vmcnt(13)
	v_add_f32_e32 v48, v32, v48
	v_add_f32_e32 v49, v33, v49
	v_sub_u32_e32 v2, v2, v47
	s_waitcnt vmcnt(12)
	v_add_f32_e32 v47, v28, v48
	v_add_f32_e32 v48, v29, v49
	s_waitcnt vmcnt(11)
	v_add_f32_e32 v47, v24, v47
	v_add_f32_e32 v48, v25, v48
	;; [unrolled: 3-line block ×13, first 2 shown]
	v_add_f32_e32 v49, v42, v44
	v_sub_f32_e32 v42, v42, v44
	v_mul_f32_e32 v51, 0xbeb8f4ab, v42
	v_mul_f32_e32 v55, 0xbf2c7751, v42
	;; [unrolled: 1-line block ×8, first 2 shown]
	v_add_f32_e32 v50, v43, v45
	s_mov_b32 s4, 0x3f6eb680
	v_mov_b32_e32 v52, v51
	s_mov_b32 s5, 0x3f3d2fb0
	v_mov_b32_e32 v56, v55
	;; [unrolled: 2-line block ×8, first 2 shown]
	v_fmac_f32_e32 v52, 0x3f6eb680, v50
	v_fma_f32 v51, v50, s4, -v51
	v_fmac_f32_e32 v56, 0x3f3d2fb0, v50
	v_fma_f32 v55, v50, s5, -v55
	;; [unrolled: 2-line block ×8, first 2 shown]
	v_mul_f32_e32 v44, 0x3f6eb680, v49
	v_add_f32_e32 v52, v52, v41
	v_add_f32_e32 v51, v51, v41
	v_mul_f32_e32 v53, 0x3f3d2fb0, v49
	v_add_f32_e32 v56, v56, v41
	v_add_f32_e32 v55, v55, v41
	;; [unrolled: 3-line block ×8, first 2 shown]
	v_add_f32_e32 v42, v36, v38
	v_sub_f32_e32 v43, v43, v45
	v_mov_b32_e32 v45, v44
	v_mov_b32_e32 v54, v53
	;; [unrolled: 1-line block ×8, first 2 shown]
	v_sub_f32_e32 v36, v36, v38
	v_mul_f32_e32 v38, 0x3f3d2fb0, v42
	v_fmac_f32_e32 v45, 0x3eb8f4ab, v43
	v_fmac_f32_e32 v44, 0xbeb8f4ab, v43
	;; [unrolled: 1-line block ×16, first 2 shown]
	v_add_f32_e32 v43, v37, v39
	v_sub_f32_e32 v37, v37, v39
	v_mov_b32_e32 v39, v38
	v_add_f32_e32 v45, v45, v40
	v_fmac_f32_e32 v39, 0x3f2c7751, v37
	v_add_f32_e32 v44, v44, v40
	v_add_f32_e32 v39, v39, v45
	v_mul_f32_e32 v45, 0xbf2c7751, v36
	v_fmac_f32_e32 v38, 0xbf2c7751, v37
	v_add_f32_e32 v54, v54, v40
	v_add_f32_e32 v53, v53, v40
	;; [unrolled: 1-line block ×14, first 2 shown]
	v_mov_b32_e32 v49, v45
	v_add_f32_e32 v38, v38, v44
	v_fma_f32 v44, v43, s5, -v45
	v_mul_f32_e32 v45, 0x3dbcf732, v42
	v_mov_b32_e32 v50, v45
	v_fmac_f32_e32 v45, 0xbf7ee86f, v37
	v_fmac_f32_e32 v50, 0x3f7ee86f, v37
	v_add_f32_e32 v45, v45, v53
	v_mul_f32_e32 v53, 0xbf1a4643, v42
	v_fmac_f32_e32 v49, 0x3f3d2fb0, v43
	v_add_f32_e32 v44, v44, v51
	v_add_f32_e32 v50, v50, v54
	v_mul_f32_e32 v51, 0xbf7ee86f, v36
	v_mov_b32_e32 v54, v53
	v_fmac_f32_e32 v53, 0xbf4c4adb, v37
	v_add_f32_e32 v49, v49, v52
	v_mov_b32_e32 v52, v51
	v_fma_f32 v51, v43, s7, -v51
	v_fmac_f32_e32 v54, 0x3f4c4adb, v37
	v_add_f32_e32 v53, v53, v57
	v_mul_f32_e32 v57, 0xbf7ba420, v42
	v_fmac_f32_e32 v52, 0x3dbcf732, v43
	v_add_f32_e32 v51, v51, v55
	v_add_f32_e32 v54, v54, v58
	v_mul_f32_e32 v55, 0xbf4c4adb, v36
	v_mov_b32_e32 v58, v57
	v_fmac_f32_e32 v57, 0xbe3c28d5, v37
	v_add_f32_e32 v52, v52, v56
	v_mov_b32_e32 v56, v55
	v_fma_f32 v55, v43, s11, -v55
	;; [unrolled: 12-line block ×4, first 2 shown]
	v_fmac_f32_e32 v66, 0xbf763a35, v37
	v_add_f32_e32 v65, v65, v69
	v_mul_f32_e32 v69, 0x3ee437d1, v42
	v_fmac_f32_e32 v64, 0xbf59a7d5, v43
	v_add_f32_e32 v63, v63, v67
	v_add_f32_e32 v66, v66, v70
	v_mul_f32_e32 v67, 0x3f763a35, v36
	v_mov_b32_e32 v70, v69
	v_fmac_f32_e32 v69, 0x3f65296c, v37
	v_mul_f32_e32 v42, 0x3f6eb680, v42
	v_add_f32_e32 v64, v64, v68
	v_mov_b32_e32 v68, v67
	v_fma_f32 v67, v43, s10, -v67
	v_add_f32_e32 v69, v69, v73
	v_mov_b32_e32 v73, v42
	v_fmac_f32_e32 v42, 0x3eb8f4ab, v37
	v_add_f32_e32 v67, v67, v71
	v_fmac_f32_e32 v70, 0xbf65296c, v37
	v_mul_f32_e32 v71, 0x3f65296c, v36
	v_fmac_f32_e32 v73, 0xbeb8f4ab, v37
	v_mul_f32_e32 v36, 0x3eb8f4ab, v36
	v_add_f32_e32 v37, v42, v40
	v_add_f32_e32 v40, v32, v34
	;; [unrolled: 1-line block ×3, first 2 shown]
	v_mov_b32_e32 v74, v36
	v_fma_f32 v36, v43, s4, -v36
	v_sub_f32_e32 v32, v32, v34
	v_mul_f32_e32 v34, 0x3ee437d1, v40
	v_add_f32_e32 v36, v36, v41
	v_add_f32_e32 v41, v33, v35
	v_sub_f32_e32 v33, v33, v35
	v_mov_b32_e32 v35, v34
	v_fmac_f32_e32 v35, 0x3f65296c, v33
	v_fmac_f32_e32 v68, 0xbe8c1d8e, v43
	v_add_f32_e32 v35, v35, v39
	v_mul_f32_e32 v39, 0xbf65296c, v32
	v_fmac_f32_e32 v34, 0xbf65296c, v33
	v_add_f32_e32 v68, v68, v72
	v_mov_b32_e32 v72, v71
	v_mov_b32_e32 v42, v39
	v_add_f32_e32 v34, v34, v38
	v_fma_f32 v38, v41, s6, -v39
	v_mul_f32_e32 v39, 0xbf1a4643, v40
	v_fmac_f32_e32 v72, 0x3ee437d1, v43
	v_fma_f32 v71, v43, s6, -v71
	v_fmac_f32_e32 v74, 0x3f6eb680, v43
	v_mov_b32_e32 v43, v39
	v_fmac_f32_e32 v39, 0xbf4c4adb, v33
	v_fmac_f32_e32 v42, 0x3ee437d1, v41
	v_add_f32_e32 v38, v38, v44
	v_fmac_f32_e32 v43, 0x3f4c4adb, v33
	v_mul_f32_e32 v44, 0xbf4c4adb, v32
	v_add_f32_e32 v39, v39, v45
	v_mul_f32_e32 v45, 0xbf7ba420, v40
	v_add_f32_e32 v42, v42, v49
	v_add_f32_e32 v43, v43, v50
	v_mov_b32_e32 v49, v44
	v_fma_f32 v44, v41, s11, -v44
	v_mov_b32_e32 v50, v45
	v_fmac_f32_e32 v45, 0x3e3c28d5, v33
	v_fmac_f32_e32 v49, 0xbf1a4643, v41
	v_add_f32_e32 v44, v44, v51
	v_fmac_f32_e32 v50, 0xbe3c28d5, v33
	v_mul_f32_e32 v51, 0x3e3c28d5, v32
	v_add_f32_e32 v45, v45, v53
	v_mul_f32_e32 v53, 0xbe8c1d8e, v40
	v_add_f32_e32 v49, v49, v52
	v_add_f32_e32 v50, v50, v54
	v_mov_b32_e32 v52, v51
	v_fma_f32 v51, v41, s17, -v51
	;; [unrolled: 12-line block ×5, first 2 shown]
	v_mov_b32_e32 v66, v65
	v_add_f32_e32 v63, v63, v67
	v_fmac_f32_e32 v66, 0x3f7ee86f, v33
	v_mul_f32_e32 v67, 0xbf7ee86f, v32
	v_mul_f32_e32 v32, 0xbf06c442, v32
	v_add_f32_e32 v66, v66, v70
	v_mov_b32_e32 v70, v32
	v_fma_f32 v32, v41, s16, -v32
	v_fmac_f32_e32 v65, 0xbf7ee86f, v33
	v_mul_f32_e32 v40, 0xbf59a7d5, v40
	v_add_f32_e32 v32, v32, v36
	v_add_f32_e32 v36, v28, v30
	;; [unrolled: 1-line block ×3, first 2 shown]
	v_mov_b32_e32 v69, v40
	v_fmac_f32_e32 v40, 0xbf06c442, v33
	v_sub_f32_e32 v28, v28, v30
	v_mul_f32_e32 v30, 0x3dbcf732, v36
	v_fmac_f32_e32 v69, 0x3f06c442, v33
	v_add_f32_e32 v33, v40, v37
	v_add_f32_e32 v37, v29, v31
	v_sub_f32_e32 v29, v29, v31
	v_mov_b32_e32 v31, v30
	v_fmac_f32_e32 v31, 0x3f7ee86f, v29
	v_fmac_f32_e32 v64, 0x3f6eb680, v41
	v_add_f32_e32 v31, v31, v35
	v_mul_f32_e32 v35, 0xbf7ee86f, v28
	v_fmac_f32_e32 v30, 0xbf7ee86f, v29
	v_add_f32_e32 v64, v64, v68
	v_mov_b32_e32 v68, v67
	v_mov_b32_e32 v40, v35
	v_add_f32_e32 v30, v30, v34
	v_fma_f32 v34, v37, s7, -v35
	v_mul_f32_e32 v35, 0xbf7ba420, v36
	v_fmac_f32_e32 v68, 0x3dbcf732, v41
	v_fma_f32 v67, v41, s7, -v67
	v_fmac_f32_e32 v70, 0xbf59a7d5, v41
	v_fmac_f32_e32 v40, 0x3dbcf732, v37
	v_add_f32_e32 v34, v34, v38
	v_mov_b32_e32 v38, v35
	v_mul_f32_e32 v41, 0xbe3c28d5, v28
	v_fmac_f32_e32 v35, 0xbe3c28d5, v29
	v_add_f32_e32 v40, v40, v42
	v_fmac_f32_e32 v38, 0x3e3c28d5, v29
	v_mov_b32_e32 v42, v41
	v_add_f32_e32 v35, v35, v39
	v_fma_f32 v39, v37, s17, -v41
	v_mul_f32_e32 v41, 0xbe8c1d8e, v36
	v_add_f32_e32 v38, v38, v43
	v_mov_b32_e32 v43, v41
	v_fmac_f32_e32 v41, 0x3f763a35, v29
	v_fmac_f32_e32 v42, 0xbf7ba420, v37
	v_add_f32_e32 v39, v39, v44
	v_fmac_f32_e32 v43, 0xbf763a35, v29
	v_mul_f32_e32 v44, 0x3f763a35, v28
	v_add_f32_e32 v41, v41, v45
	v_mul_f32_e32 v45, 0x3f6eb680, v36
	v_add_f32_e32 v42, v42, v49
	v_add_f32_e32 v43, v43, v50
	v_mov_b32_e32 v49, v44
	v_fma_f32 v44, v37, s10, -v44
	v_mov_b32_e32 v50, v45
	v_fmac_f32_e32 v45, 0x3eb8f4ab, v29
	v_fmac_f32_e32 v49, 0xbe8c1d8e, v37
	v_add_f32_e32 v44, v44, v51
	v_fmac_f32_e32 v50, 0xbeb8f4ab, v29
	v_mul_f32_e32 v51, 0x3eb8f4ab, v28
	v_add_f32_e32 v45, v45, v53
	v_mul_f32_e32 v53, 0x3ee437d1, v36
	v_add_f32_e32 v49, v49, v52
	v_add_f32_e32 v50, v50, v54
	v_mov_b32_e32 v52, v51
	v_fma_f32 v51, v37, s4, -v51
	;; [unrolled: 12-line block ×4, first 2 shown]
	v_mov_b32_e32 v62, v61
	v_add_f32_e32 v59, v59, v63
	v_fmac_f32_e32 v62, 0xbf4c4adb, v29
	v_mul_f32_e32 v63, 0x3f4c4adb, v28
	v_mul_f32_e32 v28, 0x3f2c7751, v28
	v_add_f32_e32 v62, v62, v66
	v_mov_b32_e32 v66, v28
	v_fma_f32 v28, v37, s5, -v28
	v_fmac_f32_e32 v61, 0x3f4c4adb, v29
	v_mul_f32_e32 v36, 0x3f3d2fb0, v36
	v_add_f32_e32 v28, v28, v32
	v_add_f32_e32 v32, v24, v26
	;; [unrolled: 1-line block ×3, first 2 shown]
	v_mov_b32_e32 v65, v36
	v_fmac_f32_e32 v36, 0x3f2c7751, v29
	v_sub_f32_e32 v24, v24, v26
	v_mul_f32_e32 v26, 0xbe8c1d8e, v32
	v_fmac_f32_e32 v65, 0xbf2c7751, v29
	v_add_f32_e32 v29, v36, v33
	v_add_f32_e32 v33, v25, v27
	v_sub_f32_e32 v25, v25, v27
	v_mov_b32_e32 v27, v26
	v_fmac_f32_e32 v27, 0x3f763a35, v25
	v_add_f32_e32 v27, v27, v31
	v_mul_f32_e32 v31, 0xbf763a35, v24
	v_fmac_f32_e32 v26, 0xbf763a35, v25
	v_fmac_f32_e32 v60, 0xbf59a7d5, v37
	v_mov_b32_e32 v36, v31
	v_add_f32_e32 v26, v26, v30
	v_fma_f32 v30, v33, s10, -v31
	v_mul_f32_e32 v31, 0xbf59a7d5, v32
	v_add_f32_e32 v60, v60, v64
	v_mov_b32_e32 v64, v63
	v_add_f32_e32 v30, v30, v34
	v_mov_b32_e32 v34, v31
	v_fmac_f32_e32 v64, 0xbf1a4643, v37
	v_fma_f32 v63, v37, s11, -v63
	v_fmac_f32_e32 v66, 0x3f3d2fb0, v37
	v_fmac_f32_e32 v34, 0xbf06c442, v25
	v_mul_f32_e32 v37, 0x3f06c442, v24
	v_fmac_f32_e32 v31, 0x3f06c442, v25
	v_add_f32_e32 v34, v34, v38
	v_mov_b32_e32 v38, v37
	v_add_f32_e32 v31, v31, v35
	v_fma_f32 v35, v33, s16, -v37
	v_mul_f32_e32 v37, 0x3f3d2fb0, v32
	v_fmac_f32_e32 v36, 0xbe8c1d8e, v33
	v_add_f32_e32 v35, v35, v39
	v_mov_b32_e32 v39, v37
	v_fmac_f32_e32 v37, 0x3f2c7751, v25
	v_add_f32_e32 v36, v36, v40
	v_fmac_f32_e32 v38, 0xbf59a7d5, v33
	v_fmac_f32_e32 v39, 0xbf2c7751, v25
	v_mul_f32_e32 v40, 0x3f2c7751, v24
	v_add_f32_e32 v37, v37, v41
	v_mul_f32_e32 v41, 0x3ee437d1, v32
	v_add_f32_e32 v38, v38, v42
	v_add_f32_e32 v39, v39, v43
	v_mov_b32_e32 v42, v40
	v_fma_f32 v40, v33, s5, -v40
	v_mov_b32_e32 v43, v41
	v_fmac_f32_e32 v41, 0xbf65296c, v25
	v_fmac_f32_e32 v42, 0x3f3d2fb0, v33
	v_add_f32_e32 v40, v40, v44
	v_fmac_f32_e32 v43, 0x3f65296c, v25
	v_mul_f32_e32 v44, 0xbf65296c, v24
	v_add_f32_e32 v41, v41, v45
	v_mul_f32_e32 v45, 0xbf7ba420, v32
	v_add_f32_e32 v42, v42, v49
	v_add_f32_e32 v43, v43, v50
	v_mov_b32_e32 v49, v44
	v_fma_f32 v44, v33, s6, -v44
	v_mov_b32_e32 v50, v45
	v_fmac_f32_e32 v45, 0xbe3c28d5, v25
	v_fmac_f32_e32 v49, 0x3ee437d1, v33
	v_add_f32_e32 v44, v44, v51
	;; [unrolled: 12-line block ×3, first 2 shown]
	v_fmac_f32_e32 v54, 0xbf7ee86f, v25
	v_mul_f32_e32 v55, 0x3f7ee86f, v24
	v_add_f32_e32 v53, v53, v57
	v_mul_f32_e32 v57, 0x3f6eb680, v32
	v_add_f32_e32 v52, v52, v56
	v_add_f32_e32 v54, v54, v58
	v_mov_b32_e32 v56, v55
	v_fma_f32 v55, v33, s7, -v55
	v_mov_b32_e32 v58, v57
	v_add_f32_e32 v55, v55, v59
	v_fmac_f32_e32 v58, 0x3eb8f4ab, v25
	v_mul_f32_e32 v59, 0xbeb8f4ab, v24
	v_mul_f32_e32 v24, 0xbf4c4adb, v24
	v_add_f32_e32 v58, v58, v62
	v_mov_b32_e32 v62, v24
	v_fma_f32 v24, v33, s11, -v24
	v_fmac_f32_e32 v57, 0xbeb8f4ab, v25
	v_mul_f32_e32 v32, 0xbf1a4643, v32
	v_add_f32_e32 v24, v24, v28
	v_add_f32_e32 v28, v20, v22
	;; [unrolled: 1-line block ×3, first 2 shown]
	v_mov_b32_e32 v61, v32
	v_fmac_f32_e32 v32, 0xbf4c4adb, v25
	v_sub_f32_e32 v20, v20, v22
	v_mul_f32_e32 v22, 0xbf1a4643, v28
	v_fmac_f32_e32 v61, 0x3f4c4adb, v25
	v_add_f32_e32 v25, v32, v29
	v_add_f32_e32 v29, v21, v23
	v_sub_f32_e32 v21, v21, v23
	v_mov_b32_e32 v23, v22
	v_fmac_f32_e32 v23, 0x3f4c4adb, v21
	v_add_f32_e32 v23, v23, v27
	v_mul_f32_e32 v27, 0xbf4c4adb, v20
	v_fmac_f32_e32 v22, 0xbf4c4adb, v21
	v_fmac_f32_e32 v56, 0x3dbcf732, v33
	v_mov_b32_e32 v32, v27
	v_add_f32_e32 v22, v22, v26
	v_fma_f32 v26, v29, s11, -v27
	v_mul_f32_e32 v27, 0xbe8c1d8e, v28
	v_add_f32_e32 v56, v56, v60
	v_mov_b32_e32 v60, v59
	v_add_f32_e32 v26, v26, v30
	v_mov_b32_e32 v30, v27
	v_fmac_f32_e32 v60, 0x3f6eb680, v33
	v_fma_f32 v59, v33, s4, -v59
	v_fmac_f32_e32 v62, 0xbf1a4643, v33
	v_fmac_f32_e32 v30, 0xbf763a35, v21
	v_mul_f32_e32 v33, 0x3f763a35, v20
	v_fmac_f32_e32 v27, 0x3f763a35, v21
	v_add_f32_e32 v30, v30, v34
	v_mov_b32_e32 v34, v33
	v_add_f32_e32 v27, v27, v31
	v_fma_f32 v31, v29, s10, -v33
	v_mul_f32_e32 v33, 0x3f6eb680, v28
	v_fmac_f32_e32 v32, 0xbf1a4643, v29
	v_add_f32_e32 v31, v31, v35
	v_mov_b32_e32 v35, v33
	v_fmac_f32_e32 v33, 0xbeb8f4ab, v21
	v_add_f32_e32 v32, v32, v36
	v_fmac_f32_e32 v34, 0xbe8c1d8e, v29
	v_fmac_f32_e32 v35, 0x3eb8f4ab, v21
	v_mul_f32_e32 v36, 0xbeb8f4ab, v20
	v_add_f32_e32 v33, v33, v37
	v_mul_f32_e32 v37, 0xbf59a7d5, v28
	v_add_f32_e32 v34, v34, v38
	v_add_f32_e32 v35, v35, v39
	v_mov_b32_e32 v38, v36
	v_fma_f32 v36, v29, s4, -v36
	v_mov_b32_e32 v39, v37
	v_fmac_f32_e32 v37, 0xbf06c442, v21
	v_fmac_f32_e32 v38, 0x3f6eb680, v29
	v_add_f32_e32 v36, v36, v40
	v_fmac_f32_e32 v39, 0x3f06c442, v21
	v_mul_f32_e32 v40, 0xbf06c442, v20
	v_add_f32_e32 v37, v37, v41
	v_mul_f32_e32 v41, 0x3dbcf732, v28
	v_add_f32_e32 v38, v38, v42
	v_add_f32_e32 v39, v39, v43
	v_mov_b32_e32 v42, v40
	v_fma_f32 v40, v29, s16, -v40
	v_mov_b32_e32 v43, v41
	v_fmac_f32_e32 v41, 0x3f7ee86f, v21
	v_fmac_f32_e32 v42, 0xbf59a7d5, v29
	v_add_f32_e32 v40, v40, v44
	;; [unrolled: 12-line block ×3, first 2 shown]
	v_fmac_f32_e32 v50, 0x3f2c7751, v21
	v_mul_f32_e32 v51, 0xbf2c7751, v20
	v_add_f32_e32 v45, v45, v53
	v_mul_f32_e32 v53, 0xbf7ba420, v28
	v_add_f32_e32 v49, v49, v52
	v_add_f32_e32 v50, v50, v54
	v_mov_b32_e32 v52, v51
	v_fma_f32 v51, v29, s5, -v51
	v_mov_b32_e32 v54, v53
	v_add_f32_e32 v51, v51, v55
	v_fmac_f32_e32 v54, 0x3e3c28d5, v21
	v_mul_f32_e32 v55, 0xbe3c28d5, v20
	v_mul_f32_e32 v20, 0x3f65296c, v20
	v_add_f32_e32 v54, v54, v58
	v_mov_b32_e32 v58, v20
	v_fma_f32 v20, v29, s6, -v20
	v_fmac_f32_e32 v53, 0xbe3c28d5, v21
	v_mul_f32_e32 v28, 0x3ee437d1, v28
	v_add_f32_e32 v20, v20, v24
	v_add_f32_e32 v24, v16, v18
	;; [unrolled: 1-line block ×3, first 2 shown]
	v_mov_b32_e32 v57, v28
	v_fmac_f32_e32 v28, 0x3f65296c, v21
	v_sub_f32_e32 v16, v16, v18
	v_mul_f32_e32 v18, 0xbf59a7d5, v24
	v_fmac_f32_e32 v57, 0xbf65296c, v21
	v_add_f32_e32 v21, v28, v25
	v_add_f32_e32 v25, v17, v19
	v_sub_f32_e32 v17, v17, v19
	v_mov_b32_e32 v19, v18
	v_fmac_f32_e32 v19, 0x3f06c442, v17
	v_add_f32_e32 v19, v19, v23
	v_mul_f32_e32 v23, 0xbf06c442, v16
	v_fmac_f32_e32 v18, 0xbf06c442, v17
	v_fmac_f32_e32 v52, 0x3f3d2fb0, v29
	v_mov_b32_e32 v28, v23
	v_add_f32_e32 v18, v18, v22
	v_fma_f32 v22, v25, s16, -v23
	v_mul_f32_e32 v23, 0x3ee437d1, v24
	v_add_f32_e32 v52, v52, v56
	v_mov_b32_e32 v56, v55
	v_add_f32_e32 v22, v22, v26
	v_mov_b32_e32 v26, v23
	v_fmac_f32_e32 v56, 0xbf7ba420, v29
	v_fma_f32 v55, v29, s17, -v55
	v_fmac_f32_e32 v58, 0x3ee437d1, v29
	v_fmac_f32_e32 v26, 0xbf65296c, v17
	v_mul_f32_e32 v29, 0x3f65296c, v16
	v_fmac_f32_e32 v28, 0xbf59a7d5, v25
	v_add_f32_e32 v26, v26, v30
	v_mov_b32_e32 v30, v29
	v_add_f32_e32 v28, v28, v32
	v_fmac_f32_e32 v30, 0x3ee437d1, v25
	v_fmac_f32_e32 v23, 0x3f65296c, v17
	v_mul_f32_e32 v32, 0xbf7ee86f, v16
	v_add_f32_e32 v30, v30, v34
	v_add_f32_e32 v23, v23, v27
	v_fma_f32 v27, v25, s6, -v29
	v_mul_f32_e32 v29, 0x3dbcf732, v24
	v_mov_b32_e32 v34, v32
	v_fma_f32 v32, v25, s7, -v32
	v_add_f32_e32 v27, v27, v31
	v_mov_b32_e32 v31, v29
	v_fmac_f32_e32 v34, 0x3dbcf732, v25
	v_fmac_f32_e32 v29, 0xbf7ee86f, v17
	v_add_f32_e32 v32, v32, v36
	v_mul_f32_e32 v36, 0x3f4c4adb, v16
	v_fmac_f32_e32 v31, 0x3f7ee86f, v17
	v_add_f32_e32 v34, v34, v38
	v_add_f32_e32 v29, v29, v33
	v_mul_f32_e32 v33, 0xbf1a4643, v24
	v_mov_b32_e32 v38, v36
	v_fma_f32 v36, v25, s11, -v36
	v_add_f32_e32 v71, v71, v75
	v_add_f32_e32 v31, v31, v35
	v_mov_b32_e32 v35, v33
	v_fmac_f32_e32 v38, 0xbf1a4643, v25
	v_fmac_f32_e32 v33, 0x3f4c4adb, v17
	v_add_f32_e32 v36, v36, v40
	v_mul_f32_e32 v40, 0xbeb8f4ab, v16
	v_add_f32_e32 v67, v67, v71
	v_fmac_f32_e32 v35, 0xbf4c4adb, v17
	v_add_f32_e32 v38, v38, v42
	v_add_f32_e32 v33, v33, v37
	v_mul_f32_e32 v37, 0x3f6eb680, v24
	v_mov_b32_e32 v42, v40
	v_fma_f32 v40, v25, s4, -v40
	v_add_f32_e32 v63, v63, v67
	v_add_f32_e32 v35, v35, v39
	v_mov_b32_e32 v39, v37
	v_fmac_f32_e32 v42, 0x3f6eb680, v25
	v_fmac_f32_e32 v37, 0xbeb8f4ab, v17
	v_add_f32_e32 v40, v40, v44
	v_mul_f32_e32 v44, 0xbe3c28d5, v16
	v_add_f32_e32 v59, v59, v63
	v_fmac_f32_e32 v39, 0x3eb8f4ab, v17
	v_add_f32_e32 v42, v42, v49
	v_add_f32_e32 v37, v37, v41
	v_mul_f32_e32 v41, 0xbf7ba420, v24
	v_mov_b32_e32 v49, v44
	v_fma_f32 v44, v25, s17, -v44
	v_add_f32_e32 v55, v55, v59
	v_add_f32_e32 v39, v39, v43
	v_mov_b32_e32 v43, v41
	v_fmac_f32_e32 v41, 0xbe3c28d5, v17
	v_add_f32_e32 v59, v44, v51
	v_mul_f32_e32 v44, 0x3f3d2fb0, v24
	v_add_f32_e32 v41, v41, v45
	v_mov_b32_e32 v45, v44
	v_add_f32_e32 v73, v73, v77
	v_fmac_f32_e32 v45, 0xbf2c7751, v17
	v_add_f32_e32 v69, v69, v73
	v_add_f32_e32 v54, v45, v54
	v_mul_f32_e32 v45, 0x3f2c7751, v16
	v_fmac_f32_e32 v44, 0x3f2c7751, v17
	v_add_f32_e32 v65, v65, v69
	v_add_f32_e32 v53, v44, v53
	v_fma_f32 v44, v25, s5, -v45
	v_mul_f32_e32 v24, 0xbe8c1d8e, v24
	v_add_f32_e32 v61, v61, v65
	v_add_f32_e32 v55, v44, v55
	v_mov_b32_e32 v44, v24
	v_add_f32_e32 v57, v57, v61
	v_fmac_f32_e32 v44, 0x3f763a35, v17
	v_mul_f32_e32 v16, 0xbf763a35, v16
	v_add_f32_e32 v57, v44, v57
	v_mov_b32_e32 v44, v16
	v_fma_f32 v16, v25, s10, -v16
	v_add_f32_e32 v16, v16, v20
	v_add_f32_e32 v20, v12, v14
	v_fmac_f32_e32 v24, 0xbf763a35, v17
	v_sub_f32_e32 v14, v12, v14
	v_mul_f32_e32 v12, 0xbf7ba420, v20
	v_fmac_f32_e32 v43, 0x3e3c28d5, v17
	v_add_f32_e32 v17, v24, v21
	v_add_f32_e32 v21, v13, v15
	v_sub_f32_e32 v15, v13, v15
	v_mov_b32_e32 v13, v12
	v_fmac_f32_e32 v13, 0x3e3c28d5, v15
	v_add_f32_e32 v19, v13, v19
	v_mul_f32_e32 v13, 0xbe3c28d5, v14
	v_fmac_f32_e32 v12, 0xbe3c28d5, v15
	v_mov_b32_e32 v24, v13
	v_add_f32_e32 v12, v12, v18
	v_fma_f32 v13, v21, s17, -v13
	v_mul_f32_e32 v18, 0x3f6eb680, v20
	v_add_f32_e32 v72, v72, v76
	v_add_f32_e32 v13, v13, v22
	v_mov_b32_e32 v22, v18
	v_add_f32_e32 v68, v68, v72
	v_fmac_f32_e32 v22, 0xbeb8f4ab, v15
	v_add_f32_e32 v64, v64, v68
	v_fmac_f32_e32 v49, 0xbf7ba420, v25
	v_fmac_f32_e32 v24, 0xbf7ba420, v21
	v_add_f32_e32 v26, v22, v26
	v_mul_f32_e32 v22, 0x3eb8f4ab, v14
	v_add_f32_e32 v60, v60, v64
	v_add_f32_e32 v52, v49, v52
	v_mov_b32_e32 v49, v45
	v_add_f32_e32 v51, v24, v28
	v_mov_b32_e32 v24, v22
	v_fmac_f32_e32 v18, 0x3eb8f4ab, v15
	v_fma_f32 v22, v21, s4, -v22
	v_add_f32_e32 v56, v56, v60
	v_fmac_f32_e32 v49, 0x3f3d2fb0, v25
	v_fmac_f32_e32 v24, 0x3f6eb680, v21
	v_add_f32_e32 v18, v18, v23
	v_add_f32_e32 v23, v22, v27
	v_mul_f32_e32 v22, 0xbf59a7d5, v20
	v_add_f32_e32 v56, v49, v56
	v_add_f32_e32 v49, v24, v30
	v_mov_b32_e32 v24, v22
	v_fmac_f32_e32 v24, 0x3f06c442, v15
	v_add_f32_e32 v28, v24, v31
	v_mul_f32_e32 v24, 0xbf06c442, v14
	v_fmac_f32_e32 v22, 0xbf06c442, v15
	v_fmac_f32_e32 v44, 0xbe8c1d8e, v25
	v_mov_b32_e32 v25, v24
	v_add_f32_e32 v30, v22, v29
	v_fma_f32 v22, v21, s16, -v24
	v_fmac_f32_e32 v25, 0xbf59a7d5, v21
	v_add_f32_e32 v24, v22, v32
	v_mul_f32_e32 v22, 0x3f3d2fb0, v20
	v_add_f32_e32 v74, v74, v78
	v_add_f32_e32 v43, v43, v50
	v_add_f32_e32 v50, v25, v34
	v_mov_b32_e32 v25, v22
	v_add_f32_e32 v70, v70, v74
	v_fmac_f32_e32 v25, 0xbf2c7751, v15
	v_add_f32_e32 v66, v66, v70
	v_add_f32_e32 v31, v25, v35
	v_mul_f32_e32 v25, 0x3f2c7751, v14
	v_fmac_f32_e32 v22, 0x3f2c7751, v15
	v_add_f32_e32 v62, v62, v66
	v_mov_b32_e32 v27, v25
	v_add_f32_e32 v32, v22, v33
	v_fma_f32 v22, v21, s5, -v25
	v_add_f32_e32 v58, v58, v62
	v_fmac_f32_e32 v27, 0x3f3d2fb0, v21
	v_add_f32_e32 v25, v22, v36
	v_mul_f32_e32 v22, 0xbf1a4643, v20
	v_add_f32_e32 v58, v44, v58
	v_add_f32_e32 v44, v27, v38
	v_mov_b32_e32 v27, v22
	v_fmac_f32_e32 v27, 0x3f4c4adb, v15
	v_add_f32_e32 v33, v27, v39
	v_mul_f32_e32 v27, 0xbf4c4adb, v14
	v_fmac_f32_e32 v22, 0xbf4c4adb, v15
	v_mov_b32_e32 v29, v27
	v_add_f32_e32 v34, v22, v37
	v_fma_f32 v22, v21, s11, -v27
	v_fmac_f32_e32 v29, 0xbf1a4643, v21
	v_add_f32_e32 v27, v22, v40
	v_mul_f32_e32 v22, 0x3ee437d1, v20
	v_add_f32_e32 v45, v29, v42
	v_mov_b32_e32 v29, v22
	v_mul_f32_e32 v36, 0x3f65296c, v14
	v_fmac_f32_e32 v22, 0x3f65296c, v15
	v_fmac_f32_e32 v29, 0xbf65296c, v15
	v_add_f32_e32 v37, v22, v41
	v_fma_f32 v22, v21, s6, -v36
	v_add_f32_e32 v35, v29, v43
	v_mov_b32_e32 v29, v36
	v_add_f32_e32 v38, v22, v59
	v_mul_f32_e32 v22, 0xbe8c1d8e, v20
	v_fmac_f32_e32 v29, 0x3ee437d1, v21
	v_mov_b32_e32 v36, v22
	v_mul_f32_e32 v40, 0xbf763a35, v14
	v_fmac_f32_e32 v22, 0xbf763a35, v15
	v_add_f32_e32 v29, v29, v52
	v_add_f32_e32 v52, v22, v53
	v_fma_f32 v22, v21, s10, -v40
	v_mul_f32_e32 v20, 0x3dbcf732, v20
	v_mov_b32_e32 v39, v40
	v_add_f32_e32 v40, v22, v55
	v_mov_b32_e32 v22, v20
	v_fmac_f32_e32 v22, 0xbf7ee86f, v15
	v_mul_f32_e32 v14, 0x3f7ee86f, v14
	v_add_f32_e32 v53, v22, v57
	v_mov_b32_e32 v22, v14
	v_mul_u32_u24_e32 v2, 0x242, v2
	v_fmac_f32_e32 v22, 0x3dbcf732, v21
	v_add_f32_e32 v41, v22, v58
	v_fma_f32 v14, v21, s7, -v14
	v_lshlrev_b32_e32 v22, 2, v2
	v_fmac_f32_e32 v20, 0x3f7ee86f, v15
	v_add_f32_e32 v42, v14, v16
	v_add_u32_e32 v14, 0, v22
	s_movk_i32 s0, 0x44
	v_fmac_f32_e32 v36, 0x3f763a35, v15
	v_add_f32_e32 v15, v20, v17
	v_mad_u32_u24 v43, v0, s0, v14
	v_add_f32_e32 v36, v36, v54
	ds_write2_b32 v43, v48, v19 offset1:1
	ds_write2_b32 v43, v26, v28 offset0:2 offset1:3
	ds_write2_b32 v43, v31, v33 offset0:4 offset1:5
	;; [unrolled: 1-line block ×7, first 2 shown]
	ds_write_b32 v43, v12 offset:64
	v_lshlrev_b32_e32 v15, 2, v0
	v_add3_u32 v37, 0, v15, v22
	v_fmac_f32_e32 v39, 0xbe8c1d8e, v21
	v_add_u32_e32 v2, v14, v15
	v_lshl_add_u32 v36, v10, 2, v14
	v_add_u32_e32 v26, 0x400, v37
	v_add_u32_e32 v28, 0x600, v37
	v_add_f32_e32 v39, v39, v56
	s_waitcnt lgkmcnt(0)
	s_barrier
	v_lshl_add_u32 v12, v11, 2, v14
	v_lshl_add_u32 v30, v5, 2, v14
	;; [unrolled: 1-line block ×7, first 2 shown]
	ds_read_b32 v69, v2
	ds_read_b32 v53, v12
	;; [unrolled: 1-line block ×9, first 2 shown]
	ds_read2_b32 v[20:21], v26 offset0:50 offset1:84
	ds_read2_b32 v[18:19], v26 offset0:118 offset1:152
	;; [unrolled: 1-line block ×4, first 2 shown]
	s_waitcnt lgkmcnt(0)
	s_barrier
	ds_write2_b32 v43, v47, v51 offset1:1
	ds_write2_b32 v43, v49, v50 offset0:2 offset1:3
	ds_write2_b32 v43, v44, v45 offset0:4 offset1:5
	ds_write2_b32 v43, v29, v39 offset0:6 offset1:7
	ds_write2_b32 v43, v41, v42 offset0:8 offset1:9
	ds_write2_b32 v43, v40, v38 offset0:10 offset1:11
	ds_write2_b32 v43, v27, v25 offset0:12 offset1:13
	ds_write2_b32 v43, v24, v23 offset0:14 offset1:15
	ds_write_b32 v43, v13 offset:64
	v_subrev_u32_e32 v13, 17, v0
	v_cmp_gt_u32_e64 s[0:1], 17, v0
	v_cndmask_b32_e64 v68, v13, v0, s[0:1]
	v_lshlrev_b32_e32 v23, 4, v68
	v_mov_b32_e32 v24, 0
	v_lshlrev_b64 v[23:24], 3, v[23:24]
	v_mov_b32_e32 v25, s9
	v_add_co_u32_e64 v23, s[2:3], s8, v23
	v_addc_co_u32_e64 v24, s[2:3], v25, v24, s[2:3]
	s_waitcnt lgkmcnt(0)
	s_barrier
	global_load_dwordx4 v[38:41], v[23:24], off
	global_load_dwordx4 v[42:45], v[23:24], off offset:16
	global_load_dwordx4 v[64:67], v[23:24], off offset:32
	global_load_dwordx4 v[70:73], v[23:24], off offset:48
	global_load_dwordx4 v[74:77], v[23:24], off offset:64
	global_load_dwordx4 v[78:81], v[23:24], off offset:80
	global_load_dwordx4 v[82:85], v[23:24], off offset:96
	global_load_dwordx4 v[86:89], v[23:24], off offset:112
	ds_read_b32 v57, v2
	ds_read_b32 v23, v12
	;; [unrolled: 1-line block ×9, first 2 shown]
	ds_read2_b32 v[49:50], v26 offset0:50 offset1:84
	ds_read2_b32 v[90:91], v26 offset0:118 offset1:152
	;; [unrolled: 1-line block ×4, first 2 shown]
	v_cmp_lt_u32_e64 s[2:3], 16, v0
	v_lshlrev_b32_e32 v68, 2, v68
	s_waitcnt vmcnt(0) lgkmcnt(0)
	s_barrier
	v_mul_f32_e32 v63, v53, v39
	v_mul_f32_e32 v47, v23, v39
	v_fmac_f32_e32 v63, v23, v38
	v_mul_f32_e32 v23, v24, v41
	v_fma_f32 v58, v59, v40, -v23
	v_mul_f32_e32 v23, v25, v43
	v_fma_f32 v62, v53, v38, -v47
	v_fma_f32 v53, v54, v42, -v23
	v_mul_f32_e32 v54, v54, v43
	v_mul_f32_e32 v23, v27, v45
	v_fmac_f32_e32 v54, v25, v42
	v_fma_f32 v51, v52, v44, -v23
	v_mul_f32_e32 v52, v52, v45
	v_mul_f32_e32 v25, v49, v75
	;; [unrolled: 1-line block ×3, first 2 shown]
	v_fmac_f32_e32 v52, v27, v44
	v_mul_f32_e32 v23, v29, v65
	v_fma_f32 v25, v20, v74, -v25
	v_mul_f32_e32 v27, v20, v75
	v_mul_f32_e32 v20, v50, v77
	v_fmac_f32_e32 v59, v24, v40
	v_fma_f32 v47, v48, v64, -v23
	v_mul_f32_e32 v23, v61, v67
	v_fma_f32 v40, v21, v76, -v20
	v_mul_f32_e32 v20, v90, v79
	v_mul_f32_e32 v48, v48, v65
	v_fma_f32 v42, v60, v66, -v23
	v_mul_f32_e32 v23, v96, v71
	v_fma_f32 v44, v18, v78, -v20
	v_mul_f32_e32 v45, v18, v79
	v_mul_f32_e32 v18, v91, v81
	v_fmac_f32_e32 v48, v29, v64
	v_fma_f32 v29, v56, v70, -v23
	v_mul_f32_e32 v23, v97, v73
	v_fmac_f32_e32 v27, v49, v74
	v_fma_f32 v49, v19, v80, -v18
	v_mul_f32_e32 v18, v92, v83
	v_mul_f32_e32 v39, v56, v71
	v_fma_f32 v23, v55, v72, -v23
	v_mul_f32_e32 v24, v55, v73
	v_fma_f32 v55, v16, v82, -v18
	v_mul_f32_e32 v56, v16, v83
	v_mul_f32_e32 v16, v93, v85
	v_mul_f32_e32 v43, v60, v67
	v_fma_f32 v60, v17, v84, -v16
	v_mul_f32_e32 v16, v94, v87
	v_mul_f32_e32 v67, v15, v89
	v_fma_f32 v64, v14, v86, -v16
	v_mul_f32_e32 v65, v14, v87
	v_mul_f32_e32 v14, v95, v89
	v_fmac_f32_e32 v67, v95, v88
	v_fmac_f32_e32 v43, v61, v66
	v_mul_f32_e32 v41, v21, v77
	v_fma_f32 v66, v15, v88, -v14
	v_sub_f32_e32 v16, v63, v67
	v_fmac_f32_e32 v39, v96, v70
	v_fmac_f32_e32 v24, v97, v72
	;; [unrolled: 1-line block ×3, first 2 shown]
	v_mul_f32_e32 v50, v19, v81
	v_mul_f32_e32 v61, v17, v85
	v_add_f32_e32 v15, v62, v66
	v_mul_f32_e32 v17, 0xbeb8f4ab, v16
	v_mul_f32_e32 v19, 0xbf2c7751, v16
	;; [unrolled: 1-line block ×8, first 2 shown]
	v_fmac_f32_e32 v45, v90, v78
	v_fmac_f32_e32 v65, v94, v86
	v_fma_f32 v18, v15, s4, -v17
	v_fmac_f32_e32 v17, 0x3f6eb680, v15
	v_fma_f32 v20, v15, s5, -v19
	;; [unrolled: 2-line block ×8, first 2 shown]
	v_fmac_f32_e32 v16, 0xbf7ba420, v15
	v_add_f32_e32 v14, v69, v62
	v_add_f32_e32 v18, v69, v18
	;; [unrolled: 1-line block ×17, first 2 shown]
	v_sub_f32_e32 v69, v59, v65
	v_add_f32_e32 v16, v58, v64
	v_mul_f32_e32 v79, 0xbf2c7751, v69
	v_fmac_f32_e32 v50, v91, v80
	v_fma_f32 v80, v16, s5, -v79
	v_fmac_f32_e32 v79, 0x3f3d2fb0, v16
	v_add_f32_e32 v17, v79, v17
	v_mul_f32_e32 v79, 0xbf7ee86f, v69
	v_add_f32_e32 v18, v80, v18
	v_fma_f32 v80, v16, s7, -v79
	v_fmac_f32_e32 v79, 0x3dbcf732, v16
	v_add_f32_e32 v19, v79, v19
	v_mul_f32_e32 v79, 0xbf4c4adb, v69
	v_add_f32_e32 v20, v80, v20
	;; [unrolled: 5-line block ×6, first 2 shown]
	v_fma_f32 v80, v16, s6, -v79
	v_fmac_f32_e32 v79, 0x3ee437d1, v16
	v_mul_f32_e32 v69, 0x3eb8f4ab, v69
	v_fmac_f32_e32 v61, v93, v84
	v_add_f32_e32 v76, v79, v76
	v_fma_f32 v79, v16, s4, -v69
	v_fmac_f32_e32 v69, 0x3f6eb680, v16
	v_add_f32_e32 v15, v69, v15
	v_sub_f32_e32 v69, v54, v61
	v_add_f32_e32 v78, v79, v78
	v_add_f32_e32 v16, v53, v60
	v_mul_f32_e32 v79, 0xbf65296c, v69
	v_add_f32_e32 v77, v80, v77
	v_fma_f32 v80, v16, s6, -v79
	v_fmac_f32_e32 v79, 0x3ee437d1, v16
	v_add_f32_e32 v17, v79, v17
	v_mul_f32_e32 v79, 0xbf4c4adb, v69
	v_add_f32_e32 v18, v80, v18
	v_fma_f32 v80, v16, s11, -v79
	v_fmac_f32_e32 v79, 0xbf1a4643, v16
	;; [unrolled: 5-line block ×7, first 2 shown]
	v_mul_f32_e32 v69, 0xbf06c442, v69
	v_fmac_f32_e32 v56, v92, v82
	v_add_f32_e32 v76, v79, v76
	v_fma_f32 v79, v16, s16, -v69
	v_fmac_f32_e32 v69, 0xbf59a7d5, v16
	v_add_f32_e32 v15, v69, v15
	v_sub_f32_e32 v69, v52, v56
	v_add_f32_e32 v78, v79, v78
	v_add_f32_e32 v16, v51, v55
	v_mul_f32_e32 v79, 0xbf7ee86f, v69
	v_add_f32_e32 v77, v80, v77
	v_fma_f32 v80, v16, s7, -v79
	v_fmac_f32_e32 v79, 0x3dbcf732, v16
	v_add_f32_e32 v17, v79, v17
	v_mul_f32_e32 v79, 0xbe3c28d5, v69
	v_add_f32_e32 v18, v80, v18
	v_fma_f32 v80, v16, s17, -v79
	v_fmac_f32_e32 v79, 0xbf7ba420, v16
	v_add_f32_e32 v19, v79, v19
	v_mul_f32_e32 v79, 0x3f763a35, v69
	v_add_f32_e32 v20, v80, v20
	v_fma_f32 v80, v16, s10, -v79
	v_fmac_f32_e32 v79, 0xbe8c1d8e, v16
	v_add_f32_e32 v21, v79, v21
	v_mul_f32_e32 v79, 0x3eb8f4ab, v69
	v_add_f32_e32 v38, v80, v38
	v_fma_f32 v80, v16, s4, -v79
	v_fmac_f32_e32 v79, 0x3f6eb680, v16
	v_add_f32_e32 v70, v79, v70
	v_mul_f32_e32 v79, 0xbf65296c, v69
	v_add_f32_e32 v71, v80, v71
	v_fma_f32 v80, v16, s6, -v79
	v_fmac_f32_e32 v79, 0x3ee437d1, v16
	v_add_f32_e32 v72, v79, v72
	v_mul_f32_e32 v79, 0xbf06c442, v69
	v_add_f32_e32 v73, v80, v73
	v_fma_f32 v80, v16, s16, -v79
	v_fmac_f32_e32 v79, 0xbf59a7d5, v16
	v_add_f32_e32 v74, v79, v74
	v_mul_f32_e32 v79, 0x3f4c4adb, v69
	v_add_f32_e32 v75, v80, v75
	v_fma_f32 v80, v16, s11, -v79
	v_fmac_f32_e32 v79, 0xbf1a4643, v16
	v_mul_f32_e32 v69, 0x3f2c7751, v69
	v_add_f32_e32 v76, v79, v76
	v_fma_f32 v79, v16, s5, -v69
	v_fmac_f32_e32 v69, 0x3f3d2fb0, v16
	v_add_f32_e32 v15, v69, v15
	v_sub_f32_e32 v69, v48, v50
	v_add_f32_e32 v78, v79, v78
	v_add_f32_e32 v16, v47, v49
	v_mul_f32_e32 v79, 0xbf763a35, v69
	v_add_f32_e32 v77, v80, v77
	v_fma_f32 v80, v16, s10, -v79
	v_fmac_f32_e32 v79, 0xbe8c1d8e, v16
	v_add_f32_e32 v17, v79, v17
	v_mul_f32_e32 v79, 0x3f06c442, v69
	v_add_f32_e32 v18, v80, v18
	v_fma_f32 v80, v16, s16, -v79
	v_fmac_f32_e32 v79, 0xbf59a7d5, v16
	v_add_f32_e32 v19, v79, v19
	v_mul_f32_e32 v79, 0x3f2c7751, v69
	v_add_f32_e32 v20, v80, v20
	v_fma_f32 v80, v16, s5, -v79
	v_fmac_f32_e32 v79, 0x3f3d2fb0, v16
	v_add_f32_e32 v21, v79, v21
	v_mul_f32_e32 v79, 0xbf65296c, v69
	v_add_f32_e32 v38, v80, v38
	v_fma_f32 v80, v16, s6, -v79
	v_fmac_f32_e32 v79, 0x3ee437d1, v16
	v_add_f32_e32 v70, v79, v70
	v_mul_f32_e32 v79, 0xbe3c28d5, v69
	v_add_f32_e32 v71, v80, v71
	v_fma_f32 v80, v16, s17, -v79
	v_fmac_f32_e32 v79, 0xbf7ba420, v16
	v_add_f32_e32 v72, v79, v72
	v_mul_f32_e32 v79, 0x3f7ee86f, v69
	v_add_f32_e32 v73, v80, v73
	v_fma_f32 v80, v16, s7, -v79
	v_fmac_f32_e32 v79, 0x3dbcf732, v16
	v_add_f32_e32 v74, v79, v74
	v_mul_f32_e32 v79, 0xbeb8f4ab, v69
	v_add_f32_e32 v75, v80, v75
	v_fma_f32 v80, v16, s4, -v79
	v_fmac_f32_e32 v79, 0x3f6eb680, v16
	v_mul_f32_e32 v69, 0xbf4c4adb, v69
	;; [unrolled: 42-line block ×3, first 2 shown]
	v_add_f32_e32 v76, v79, v76
	v_fma_f32 v79, v16, s6, -v69
	v_fmac_f32_e32 v69, 0x3ee437d1, v16
	v_add_f32_e32 v15, v69, v15
	v_sub_f32_e32 v69, v39, v41
	v_add_f32_e32 v78, v79, v78
	v_add_f32_e32 v16, v29, v40
	v_mul_f32_e32 v79, 0xbf06c442, v69
	v_add_f32_e32 v77, v80, v77
	v_fma_f32 v80, v16, s16, -v79
	v_fmac_f32_e32 v79, 0xbf59a7d5, v16
	v_add_f32_e32 v17, v79, v17
	v_mul_f32_e32 v79, 0x3f65296c, v69
	v_add_f32_e32 v18, v80, v18
	v_fma_f32 v80, v16, s6, -v79
	v_fmac_f32_e32 v79, 0x3ee437d1, v16
	v_add_f32_e32 v19, v79, v19
	v_mul_f32_e32 v79, 0xbf7ee86f, v69
	v_add_f32_e32 v20, v80, v20
	v_fma_f32 v80, v16, s7, -v79
	v_add_f32_e32 v80, v80, v38
	v_fmac_f32_e32 v79, 0x3dbcf732, v16
	v_mul_f32_e32 v38, 0x3f4c4adb, v69
	v_add_f32_e32 v21, v79, v21
	v_fma_f32 v79, v16, s11, -v38
	v_fmac_f32_e32 v38, 0xbf1a4643, v16
	v_add_f32_e32 v70, v38, v70
	v_mul_f32_e32 v38, 0xbeb8f4ab, v69
	v_add_f32_e32 v71, v79, v71
	v_fma_f32 v79, v16, s4, -v38
	v_fmac_f32_e32 v38, 0x3f6eb680, v16
	v_add_f32_e32 v73, v79, v73
	v_add_f32_e32 v79, v38, v72
	v_mul_f32_e32 v38, 0xbe3c28d5, v69
	v_fma_f32 v72, v16, s17, -v38
	v_fmac_f32_e32 v38, 0xbf7ba420, v16
	v_add_f32_e32 v82, v38, v74
	v_mul_f32_e32 v38, 0x3f2c7751, v69
	v_add_f32_e32 v81, v72, v75
	v_fma_f32 v72, v16, s5, -v38
	v_fmac_f32_e32 v38, 0x3f3d2fb0, v16
	v_add_f32_e32 v83, v38, v76
	v_mul_f32_e32 v38, 0xbf763a35, v69
	v_fma_f32 v69, v16, s10, -v38
	v_fmac_f32_e32 v38, 0xbe8c1d8e, v16
	v_sub_f32_e32 v85, v24, v27
	v_add_f32_e32 v69, v69, v78
	v_add_f32_e32 v78, v38, v15
	;; [unrolled: 1-line block ×3, first 2 shown]
	v_mul_f32_e32 v15, 0xbe3c28d5, v85
	v_fma_f32 v16, v84, s17, -v15
	v_fmac_f32_e32 v15, 0xbf7ba420, v84
	v_add_f32_e32 v38, v15, v17
	v_mul_f32_e32 v15, 0x3eb8f4ab, v85
	v_add_f32_e32 v76, v16, v18
	v_fma_f32 v16, v84, s4, -v15
	v_add_f32_e32 v74, v16, v20
	v_mul_f32_e32 v16, 0xbf06c442, v85
	v_add_f32_e32 v14, v14, v58
	v_fma_f32 v17, v84, s16, -v16
	v_add_f32_e32 v14, v14, v53
	v_add_f32_e32 v75, v17, v80
	v_mul_f32_e32 v17, 0x3f2c7751, v85
	v_add_f32_e32 v14, v14, v51
	v_fma_f32 v18, v84, s5, -v17
	v_add_f32_e32 v14, v14, v47
	v_add_f32_e32 v77, v72, v77
	v_fmac_f32_e32 v15, 0x3f6eb680, v84
	v_add_f32_e32 v72, v18, v71
	v_mul_f32_e32 v18, 0xbf4c4adb, v85
	v_add_f32_e32 v14, v14, v42
	v_add_f32_e32 v15, v15, v19
	v_fma_f32 v19, v84, s11, -v18
	v_add_f32_e32 v14, v14, v29
	v_add_f32_e32 v73, v19, v73
	v_mul_f32_e32 v19, 0x3f65296c, v85
	v_add_f32_e32 v14, v14, v23
	v_fmac_f32_e32 v17, 0x3f3d2fb0, v84
	v_fma_f32 v20, v84, s6, -v19
	v_add_f32_e32 v14, v14, v25
	v_fmac_f32_e32 v16, 0xbf59a7d5, v84
	v_add_f32_e32 v17, v17, v70
	v_add_f32_e32 v70, v20, v81
	v_mul_f32_e32 v20, 0xbf763a35, v85
	v_add_f32_e32 v14, v14, v40
	v_add_f32_e32 v16, v16, v21
	v_fma_f32 v21, v84, s10, -v20
	v_add_f32_e32 v14, v14, v44
	v_add_f32_e32 v71, v21, v77
	v_mul_f32_e32 v77, 0x3f7ee86f, v85
	v_add_f32_e32 v14, v14, v49
	v_fma_f32 v21, v84, s7, -v77
	v_fmac_f32_e32 v77, 0x3dbcf732, v84
	v_add_f32_e32 v14, v14, v55
	v_add_f32_e32 v21, v21, v69
	v_add_f32_e32 v69, v77, v78
	v_mov_b32_e32 v77, 0x484
	v_add_f32_e32 v14, v14, v60
	v_cndmask_b32_e64 v77, 0, v77, s[2:3]
	v_add_f32_e32 v14, v14, v64
	v_fmac_f32_e32 v18, 0xbf1a4643, v84
	v_fmac_f32_e32 v19, 0x3ee437d1, v84
	;; [unrolled: 1-line block ×3, first 2 shown]
	v_add_u32_e32 v77, 0, v77
	v_add_f32_e32 v14, v14, v66
	v_add_f32_e32 v18, v18, v79
	;; [unrolled: 1-line block ×4, first 2 shown]
	v_add3_u32 v22, v77, v68, v22
	ds_write2_b32 v22, v14, v76 offset1:17
	ds_write2_b32 v22, v74, v75 offset0:34 offset1:51
	ds_write2_b32 v22, v72, v73 offset0:68 offset1:85
	;; [unrolled: 1-line block ×7, first 2 shown]
	ds_write_b32 v22, v38 offset:1088
	s_waitcnt lgkmcnt(0)
	s_barrier
	ds_read2_b32 v[14:15], v26 offset0:33 offset1:67
	ds_read2_b32 v[16:17], v26 offset0:101 offset1:135
	;; [unrolled: 1-line block ×4, first 2 shown]
	ds_read_b32 v69, v2
	ds_read_b32 v70, v12
	;; [unrolled: 1-line block ×8, first 2 shown]
                                        ; implicit-def: $vgpr68
	s_and_saveexec_b64 s[2:3], s[0:1]
	s_cbranch_execz .LBB0_14
; %bb.13:
	ds_read_b32 v38, v36
	ds_read_b32 v68, v37 offset:2244
.LBB0_14:
	s_or_b64 exec, exec, s[2:3]
	v_add_f32_e32 v77, v57, v63
	v_add_f32_e32 v77, v77, v59
	;; [unrolled: 1-line block ×14, first 2 shown]
	v_sub_f32_e32 v62, v62, v66
	v_add_f32_e32 v77, v77, v65
	v_mul_f32_e32 v66, 0xbeb8f4ab, v62
	v_mul_f32_e32 v78, 0xbf2c7751, v62
	;; [unrolled: 1-line block ×8, first 2 shown]
	v_add_f32_e32 v77, v77, v67
	v_add_f32_e32 v63, v63, v67
	v_mov_b32_e32 v67, v66
	v_mov_b32_e32 v79, v78
	;; [unrolled: 1-line block ×8, first 2 shown]
	v_fmac_f32_e32 v67, 0x3f6eb680, v63
	v_fma_f32 v66, v63, s4, -v66
	v_fmac_f32_e32 v79, 0x3f3d2fb0, v63
	v_fma_f32 v78, v63, s5, -v78
	;; [unrolled: 2-line block ×8, first 2 shown]
	v_sub_f32_e32 v58, v58, v64
	v_add_f32_e32 v67, v57, v67
	v_add_f32_e32 v66, v57, v66
	v_add_f32_e32 v79, v57, v79
	v_add_f32_e32 v78, v57, v78
	v_add_f32_e32 v81, v57, v81
	v_add_f32_e32 v80, v57, v80
	v_add_f32_e32 v83, v57, v83
	v_add_f32_e32 v82, v57, v82
	v_add_f32_e32 v85, v57, v85
	v_add_f32_e32 v84, v57, v84
	v_add_f32_e32 v87, v57, v87
	v_add_f32_e32 v86, v57, v86
	v_add_f32_e32 v89, v57, v89
	v_add_f32_e32 v88, v57, v88
	v_add_f32_e32 v90, v57, v90
	v_add_f32_e32 v57, v57, v62
	v_add_f32_e32 v59, v59, v65
	v_mul_f32_e32 v62, 0xbf2c7751, v58
	v_mov_b32_e32 v63, v62
	v_fma_f32 v62, v59, s5, -v62
	v_mul_f32_e32 v64, 0xbf7ee86f, v58
	v_fmac_f32_e32 v63, 0x3f3d2fb0, v59
	v_add_f32_e32 v62, v62, v66
	v_mov_b32_e32 v65, v64
	v_fma_f32 v64, v59, s7, -v64
	v_mul_f32_e32 v66, 0xbf4c4adb, v58
	v_add_f32_e32 v63, v63, v67
	v_fmac_f32_e32 v65, 0x3dbcf732, v59
	v_add_f32_e32 v64, v64, v78
	v_mov_b32_e32 v67, v66
	v_fma_f32 v66, v59, s11, -v66
	v_mul_f32_e32 v78, 0xbe3c28d5, v58
	v_add_f32_e32 v65, v65, v79
	;; [unrolled: 6-line block ×4, first 2 shown]
	v_add_f32_e32 v80, v80, v84
	v_mov_b32_e32 v83, v82
	v_fma_f32 v82, v59, s10, -v82
	v_mul_f32_e32 v84, 0x3f65296c, v58
	v_mul_f32_e32 v58, 0x3eb8f4ab, v58
	v_fmac_f32_e32 v81, 0xbf59a7d5, v59
	v_add_f32_e32 v82, v82, v86
	v_mov_b32_e32 v86, v58
	v_fma_f32 v58, v59, s4, -v58
	v_sub_f32_e32 v53, v53, v60
	v_add_f32_e32 v81, v81, v85
	v_mov_b32_e32 v85, v84
	v_add_f32_e32 v57, v58, v57
	v_add_f32_e32 v54, v54, v61
	v_mul_f32_e32 v58, 0xbf65296c, v53
	v_fmac_f32_e32 v83, 0xbe8c1d8e, v59
	v_fmac_f32_e32 v85, 0x3ee437d1, v59
	v_fma_f32 v84, v59, s6, -v84
	v_fmac_f32_e32 v86, 0x3f6eb680, v59
	v_mov_b32_e32 v59, v58
	v_fma_f32 v58, v54, s6, -v58
	v_mul_f32_e32 v60, 0xbf4c4adb, v53
	v_fmac_f32_e32 v59, 0x3ee437d1, v54
	v_add_f32_e32 v58, v58, v62
	v_mov_b32_e32 v61, v60
	v_fma_f32 v60, v54, s11, -v60
	v_mul_f32_e32 v62, 0x3e3c28d5, v53
	v_add_f32_e32 v59, v59, v63
	v_fmac_f32_e32 v61, 0xbf1a4643, v54
	v_add_f32_e32 v60, v60, v64
	v_mov_b32_e32 v63, v62
	v_fma_f32 v62, v54, s17, -v62
	v_mul_f32_e32 v64, 0x3f763a35, v53
	v_add_f32_e32 v61, v61, v65
	;; [unrolled: 6-line block ×4, first 2 shown]
	v_fmac_f32_e32 v67, 0x3f3d2fb0, v54
	v_add_f32_e32 v66, v66, v80
	v_mov_b32_e32 v79, v78
	v_fma_f32 v78, v54, s4, -v78
	v_mul_f32_e32 v80, 0xbf7ee86f, v53
	v_mul_f32_e32 v53, 0xbf06c442, v53
	v_add_f32_e32 v67, v67, v81
	v_add_f32_e32 v78, v78, v82
	v_mov_b32_e32 v81, v80
	v_mov_b32_e32 v82, v53
	v_sub_f32_e32 v51, v51, v55
	v_fmac_f32_e32 v79, 0x3f6eb680, v54
	v_fmac_f32_e32 v81, 0x3dbcf732, v54
	v_fma_f32 v80, v54, s7, -v80
	v_fmac_f32_e32 v82, 0xbf59a7d5, v54
	v_fma_f32 v53, v54, s16, -v53
	v_add_f32_e32 v52, v52, v56
	v_mul_f32_e32 v54, 0xbf7ee86f, v51
	v_mov_b32_e32 v55, v54
	v_fma_f32 v54, v52, s7, -v54
	v_mul_f32_e32 v56, 0xbe3c28d5, v51
	v_add_f32_e32 v53, v53, v57
	v_fmac_f32_e32 v55, 0x3dbcf732, v52
	v_add_f32_e32 v54, v54, v58
	v_mov_b32_e32 v57, v56
	v_fma_f32 v56, v52, s17, -v56
	v_mul_f32_e32 v58, 0x3f763a35, v51
	v_add_f32_e32 v55, v55, v59
	v_fmac_f32_e32 v57, 0xbf7ba420, v52
	v_add_f32_e32 v56, v56, v60
	;; [unrolled: 6-line block ×5, first 2 shown]
	v_mov_b32_e32 v65, v64
	v_fma_f32 v64, v52, s16, -v64
	v_mul_f32_e32 v66, 0x3f4c4adb, v51
	v_mul_f32_e32 v51, 0x3f2c7751, v51
	v_sub_f32_e32 v47, v47, v49
	v_add_f32_e32 v63, v63, v67
	v_add_f32_e32 v64, v64, v78
	v_mov_b32_e32 v67, v66
	v_mov_b32_e32 v78, v51
	v_add_f32_e32 v48, v48, v50
	v_mul_f32_e32 v49, 0xbf763a35, v47
	v_fmac_f32_e32 v65, 0xbf59a7d5, v52
	v_fmac_f32_e32 v67, 0xbf1a4643, v52
	v_fma_f32 v66, v52, s11, -v66
	v_fmac_f32_e32 v78, 0x3f3d2fb0, v52
	v_fma_f32 v51, v52, s5, -v51
	v_mov_b32_e32 v50, v49
	v_fma_f32 v49, v48, s10, -v49
	v_mul_f32_e32 v52, 0x3f06c442, v47
	v_add_f32_e32 v51, v51, v53
	v_fmac_f32_e32 v50, 0xbe8c1d8e, v48
	v_add_f32_e32 v49, v49, v54
	v_mov_b32_e32 v53, v52
	v_fma_f32 v52, v48, s16, -v52
	v_mul_f32_e32 v54, 0x3f2c7751, v47
	v_add_f32_e32 v50, v50, v55
	v_fmac_f32_e32 v53, 0xbf59a7d5, v48
	v_add_f32_e32 v52, v52, v56
	;; [unrolled: 6-line block ×4, first 2 shown]
	v_mov_b32_e32 v59, v58
	v_fma_f32 v58, v48, s17, -v58
	v_mul_f32_e32 v60, 0x3f7ee86f, v47
	v_sub_f32_e32 v42, v42, v44
	v_add_f32_e32 v57, v57, v61
	v_fmac_f32_e32 v59, 0xbf7ba420, v48
	v_add_f32_e32 v58, v58, v62
	v_mov_b32_e32 v61, v60
	v_fma_f32 v60, v48, s7, -v60
	v_mul_f32_e32 v62, 0xbeb8f4ab, v47
	v_mul_f32_e32 v47, 0xbf4c4adb, v47
	;; [unrolled: 1-line block ×3, first 2 shown]
	v_add_f32_e32 v59, v59, v63
	v_add_f32_e32 v60, v60, v64
	v_mov_b32_e32 v63, v62
	v_mov_b32_e32 v64, v47
	v_add_f32_e32 v43, v43, v45
	v_mov_b32_e32 v45, v44
	v_fmac_f32_e32 v61, 0x3dbcf732, v48
	v_fmac_f32_e32 v63, 0x3f6eb680, v48
	v_fma_f32 v62, v48, s4, -v62
	v_fmac_f32_e32 v64, 0xbf1a4643, v48
	v_fma_f32 v47, v48, s11, -v47
	v_fmac_f32_e32 v45, 0xbf1a4643, v43
	v_fma_f32 v44, v43, s11, -v44
	v_mul_f32_e32 v48, 0x3f763a35, v42
	v_add_f32_e32 v45, v45, v50
	v_add_f32_e32 v44, v44, v49
	v_mov_b32_e32 v49, v48
	v_fma_f32 v48, v43, s10, -v48
	v_mul_f32_e32 v50, 0xbeb8f4ab, v42
	v_add_f32_e32 v47, v47, v51
	v_fmac_f32_e32 v49, 0xbe8c1d8e, v43
	v_add_f32_e32 v48, v48, v52
	v_mov_b32_e32 v51, v50
	v_fma_f32 v50, v43, s4, -v50
	v_mul_f32_e32 v52, 0xbf06c442, v42
	v_add_f32_e32 v49, v49, v53
	v_fmac_f32_e32 v51, 0x3f6eb680, v43
	;; [unrolled: 6-line block ×3, first 2 shown]
	v_add_f32_e32 v52, v52, v56
	v_mov_b32_e32 v55, v54
	v_fma_f32 v54, v43, s7, -v54
	v_mul_f32_e32 v56, 0xbf2c7751, v42
	v_sub_f32_e32 v29, v29, v40
	v_add_f32_e32 v53, v53, v57
	v_fmac_f32_e32 v55, 0x3dbcf732, v43
	v_add_f32_e32 v54, v54, v58
	v_mov_b32_e32 v57, v56
	v_fma_f32 v56, v43, s5, -v56
	v_mul_f32_e32 v58, 0xbe3c28d5, v42
	v_mul_f32_e32 v42, 0x3f65296c, v42
	;; [unrolled: 1-line block ×3, first 2 shown]
	v_add_f32_e32 v55, v55, v59
	v_add_f32_e32 v56, v56, v60
	v_mov_b32_e32 v59, v58
	v_mov_b32_e32 v60, v42
	v_add_f32_e32 v39, v39, v41
	v_mov_b32_e32 v41, v40
	v_fmac_f32_e32 v57, 0x3f3d2fb0, v43
	v_fmac_f32_e32 v59, 0xbf7ba420, v43
	v_fma_f32 v58, v43, s17, -v58
	v_fmac_f32_e32 v60, 0x3ee437d1, v43
	v_fma_f32 v42, v43, s6, -v42
	;; [unrolled: 2-line block ×3, first 2 shown]
	v_mul_f32_e32 v43, 0x3f65296c, v29
	v_add_f32_e32 v41, v41, v45
	v_add_f32_e32 v40, v40, v44
	v_mov_b32_e32 v44, v43
	v_fma_f32 v43, v39, s6, -v43
	v_mul_f32_e32 v45, 0xbf7ee86f, v29
	v_add_f32_e32 v42, v42, v47
	v_fmac_f32_e32 v44, 0x3ee437d1, v39
	v_add_f32_e32 v43, v43, v48
	v_mov_b32_e32 v47, v45
	v_fma_f32 v45, v39, s7, -v45
	v_mul_f32_e32 v48, 0x3f4c4adb, v29
	v_add_f32_e32 v44, v44, v49
	v_fmac_f32_e32 v47, 0x3dbcf732, v39
	;; [unrolled: 6-line block ×3, first 2 shown]
	v_add_f32_e32 v48, v48, v52
	v_mov_b32_e32 v51, v50
	v_fma_f32 v50, v39, s4, -v50
	v_mul_f32_e32 v52, 0xbe3c28d5, v29
	v_sub_f32_e32 v23, v23, v25
	v_add_f32_e32 v49, v49, v53
	v_fmac_f32_e32 v51, 0x3f6eb680, v39
	v_add_f32_e32 v50, v50, v54
	v_mov_b32_e32 v53, v52
	v_fma_f32 v52, v39, s17, -v52
	v_mul_f32_e32 v54, 0x3f2c7751, v29
	v_mul_f32_e32 v29, 0xbf763a35, v29
	v_add_f32_e32 v24, v24, v27
	v_mul_f32_e32 v25, 0xbe3c28d5, v23
	v_add_f32_e32 v51, v51, v55
	v_add_f32_e32 v52, v52, v56
	v_mov_b32_e32 v55, v54
	v_mov_b32_e32 v56, v29
	;; [unrolled: 1-line block ×3, first 2 shown]
	v_fma_f32 v25, v24, s17, -v25
	v_fmac_f32_e32 v53, 0xbf7ba420, v39
	v_fmac_f32_e32 v55, 0x3f3d2fb0, v39
	v_fma_f32 v54, v39, s5, -v54
	v_fmac_f32_e32 v56, 0xbe8c1d8e, v39
	v_fma_f32 v29, v39, s10, -v29
	v_fmac_f32_e32 v27, 0xbf7ba420, v24
	v_add_f32_e32 v39, v25, v40
	v_mul_f32_e32 v25, 0x3eb8f4ab, v23
	v_add_f32_e32 v27, v27, v41
	v_mov_b32_e32 v40, v25
	v_fma_f32 v25, v24, s4, -v25
	v_mul_f32_e32 v41, 0xbf06c442, v23
	v_add_f32_e32 v83, v83, v87
	v_add_f32_e32 v85, v85, v89
	v_add_f32_e32 v84, v84, v88
	v_add_f32_e32 v86, v86, v90
	v_add_f32_e32 v29, v29, v42
	v_fmac_f32_e32 v40, 0x3f6eb680, v24
	v_add_f32_e32 v25, v25, v43
	v_mov_b32_e32 v42, v41
	v_fma_f32 v41, v24, s16, -v41
	v_mul_f32_e32 v43, 0x3f2c7751, v23
	v_add_f32_e32 v79, v79, v83
	v_add_f32_e32 v81, v81, v85
	v_add_f32_e32 v80, v80, v84
	v_add_f32_e32 v82, v82, v86
	v_add_f32_e32 v40, v40, v44
	v_fmac_f32_e32 v42, 0xbf59a7d5, v24
	;; [unrolled: 10-line block ×4, first 2 shown]
	v_add_f32_e32 v45, v45, v50
	v_mov_b32_e32 v49, v48
	v_fma_f32 v48, v24, s6, -v48
	v_mul_f32_e32 v50, 0xbf763a35, v23
	v_mul_f32_e32 v23, 0x3f7ee86f, v23
	v_add_f32_e32 v57, v57, v61
	v_add_f32_e32 v59, v59, v63
	;; [unrolled: 1-line block ×6, first 2 shown]
	v_mov_b32_e32 v51, v50
	v_mov_b32_e32 v52, v23
	v_fma_f32 v23, v24, s7, -v23
	v_add_f32_e32 v53, v53, v57
	v_add_f32_e32 v55, v55, v59
	;; [unrolled: 1-line block ×4, first 2 shown]
	v_fmac_f32_e32 v49, 0x3ee437d1, v24
	v_fmac_f32_e32 v51, 0xbe8c1d8e, v24
	v_fma_f32 v50, v24, s10, -v50
	v_fmac_f32_e32 v52, 0x3dbcf732, v24
	v_add_f32_e32 v23, v23, v29
	v_add_f32_e32 v49, v49, v53
	;; [unrolled: 1-line block ×5, first 2 shown]
	s_waitcnt lgkmcnt(0)
	s_barrier
	ds_write2_b32 v22, v77, v27 offset1:17
	ds_write2_b32 v22, v40, v42 offset0:34 offset1:51
	ds_write2_b32 v22, v44, v47 offset0:68 offset1:85
	;; [unrolled: 1-line block ×7, first 2 shown]
	ds_write_b32 v22, v39 offset:1088
	s_waitcnt lgkmcnt(0)
	s_barrier
	ds_read2_b32 v[22:23], v26 offset0:33 offset1:67
	ds_read2_b32 v[24:25], v26 offset0:101 offset1:135
	;; [unrolled: 1-line block ×4, first 2 shown]
	ds_read_b32 v40, v2
	ds_read_b32 v41, v12
	;; [unrolled: 1-line block ×8, first 2 shown]
                                        ; implicit-def: $vgpr30
	s_and_saveexec_b64 s[2:3], s[0:1]
	s_cbranch_execz .LBB0_16
; %bb.15:
	ds_read_b32 v39, v36
	ds_read_b32 v30, v37 offset:2244
	v_mov_b32_e32 v13, v10
.LBB0_16:
	s_or_b64 exec, exec, s[2:3]
	s_and_saveexec_b64 s[2:3], vcc
	s_cbranch_execz .LBB0_19
; %bb.17:
	v_mov_b32_e32 v2, 0
	v_lshlrev_b64 v[36:37], 3, v[1:2]
	v_mov_b32_e32 v10, v2
	v_mov_b32_e32 v45, s9
	v_add_co_u32_e32 v36, vcc, s8, v36
	v_lshlrev_b64 v[9:10], 3, v[9:10]
	v_addc_co_u32_e32 v37, vcc, v45, v37, vcc
	v_add_co_u32_e32 v43, vcc, s8, v9
	v_mov_b32_e32 v9, v2
	v_lshlrev_b64 v[8:9], 3, v[8:9]
	v_addc_co_u32_e32 v44, vcc, v45, v10, vcc
	v_add_co_u32_e32 v8, vcc, s8, v8
	v_addc_co_u32_e32 v9, vcc, v45, v9, vcc
	global_load_dwordx2 v[47:48], v[36:37], off offset:2176
	global_load_dwordx2 v[49:50], v[43:44], off offset:2176
	;; [unrolled: 1-line block ×3, first 2 shown]
	v_mov_b32_e32 v8, v2
	v_lshlrev_b64 v[7:8], 3, v[7:8]
	v_mov_b32_e32 v12, v2
	v_add_co_u32_e32 v7, vcc, s8, v7
	v_addc_co_u32_e32 v8, vcc, v45, v8, vcc
	global_load_dwordx2 v[8:9], v[7:8], off offset:2176
	v_mov_b32_e32 v7, v2
	v_lshlrev_b64 v[6:7], 3, v[6:7]
	v_lshlrev_b64 v[10:11], 3, v[11:12]
	v_add_co_u32_e32 v6, vcc, s8, v6
	v_addc_co_u32_e32 v7, vcc, v45, v7, vcc
	global_load_dwordx2 v[36:37], v[6:7], off offset:2176
	v_mov_b32_e32 v6, v2
	v_lshlrev_b64 v[5:6], 3, v[5:6]
	v_mov_b32_e32 v1, v2
	v_add_co_u32_e32 v5, vcc, s8, v5
	v_addc_co_u32_e32 v6, vcc, v45, v6, vcc
	global_load_dwordx2 v[5:6], v[5:6], off offset:2176
	v_add_co_u32_e32 v10, vcc, s8, v10
	v_addc_co_u32_e32 v11, vcc, v45, v11, vcc
	global_load_dwordx2 v[10:11], v[10:11], off offset:2176
	v_lshlrev_b64 v[43:44], 3, v[0:1]
	v_add_co_u32_e32 v43, vcc, s8, v43
	v_addc_co_u32_e32 v44, vcc, v45, v44, vcc
	global_load_dwordx2 v[43:44], v[43:44], off offset:2176
	s_waitcnt vmcnt(7)
	v_mul_f32_e32 v1, v21, v48
	s_waitcnt lgkmcnt(8)
	v_mul_f32_e32 v7, v29, v48
	v_fmac_f32_e32 v1, v29, v47
	v_fma_f32 v7, v21, v47, -v7
	s_waitcnt vmcnt(6)
	v_mul_f32_e32 v21, v28, v50
	v_mul_f32_e32 v12, v20, v50
	s_waitcnt lgkmcnt(0)
	v_sub_f32_e32 v48, v35, v1
	v_fma_f32 v1, v20, v49, -v21
	s_waitcnt vmcnt(5)
	v_mul_f32_e32 v29, v19, v52
	v_mul_f32_e32 v45, v27, v52
	s_waitcnt vmcnt(4)
	v_mul_f32_e32 v50, v18, v9
	v_mul_f32_e32 v9, v26, v9
	v_fmac_f32_e32 v50, v26, v8
	v_fma_f32 v9, v18, v8, -v9
	v_sub_f32_e32 v18, v75, v1
	v_fmac_f32_e32 v29, v27, v51
	v_sub_f32_e32 v27, v32, v50
	v_fma_f32 v50, v32, 2.0, -v27
	s_waitcnt vmcnt(3)
	v_mul_f32_e32 v1, v17, v37
	v_fmac_f32_e32 v1, v25, v36
	v_sub_f32_e32 v32, v31, v1
	v_mul_f32_e32 v1, v25, v37
	v_fma_f32 v1, v17, v36, -v1
	v_fma_f32 v52, v31, 2.0, -v32
	v_sub_f32_e32 v31, v72, v1
	v_sub_f32_e32 v26, v73, v9
	s_waitcnt vmcnt(2)
	v_mul_f32_e32 v1, v16, v6
	v_fmac_f32_e32 v1, v24, v5
	v_sub_f32_e32 v17, v42, v1
	v_mul_f32_e32 v1, v24, v6
	v_fma_f32 v1, v16, v5, -v1
	v_sub_f32_e32 v16, v71, v1
	s_waitcnt vmcnt(1)
	v_mul_f32_e32 v1, v15, v11
	v_fmac_f32_e32 v1, v23, v10
	v_sub_f32_e32 v6, v41, v1
	v_mul_f32_e32 v1, v23, v11
	v_fma_f32 v1, v15, v10, -v1
	v_mad_u64_u32 v[9:10], s[2:3], s12, v0, 0
	v_sub_f32_e32 v5, v70, v1
	s_waitcnt vmcnt(0)
	v_mul_f32_e32 v1, v14, v44
	v_fmac_f32_e32 v1, v22, v43
	v_sub_f32_e32 v15, v40, v1
	v_mov_b32_e32 v1, v10
	v_fma_f32 v8, v35, 2.0, -v48
	v_mad_u64_u32 v[35:36], s[2:3], s13, v0, v[1:2]
	v_mul_f32_e32 v22, v22, v44
	v_fma_f32 v1, v14, v43, -v22
	v_sub_f32_e32 v14, v69, v1
	v_mov_b32_e32 v10, v35
	v_mov_b32_e32 v35, s15
	v_add_co_u32_e32 v1, vcc, s14, v3
	v_add_u32_e32 v37, 0x121, v0
	v_addc_co_u32_e32 v3, vcc, v35, v4, vcc
	v_mad_u64_u32 v[35:36], s[2:3], s12, v37, 0
	v_lshlrev_b64 v[9:10], 3, v[9:10]
	v_fma_f32 v23, v40, 2.0, -v15
	v_add_co_u32_e32 v9, vcc, v1, v9
	v_fma_f32 v22, v69, 2.0, -v14
	v_addc_co_u32_e32 v10, vcc, v3, v10, vcc
	v_mov_b32_e32 v4, v36
	global_store_dwordx2 v[9:10], v[22:23], off
	v_mad_u64_u32 v[9:10], s[2:3], s13, v37, v[4:5]
	v_mad_u64_u32 v[22:23], s[2:3], s12, v46, 0
	v_mov_b32_e32 v36, v9
	v_lshlrev_b64 v[9:10], 3, v[35:36]
	v_mov_b32_e32 v4, v23
	v_mad_u64_u32 v[35:36], s[4:5], s13, v46, v[4:5]
	v_add_co_u32_e32 v9, vcc, v1, v9
	v_addc_co_u32_e32 v10, vcc, v3, v10, vcc
	v_mov_b32_e32 v23, v35
	global_store_dwordx2 v[9:10], v[14:15], off
	v_lshlrev_b64 v[9:10], 3, v[22:23]
	v_add_u32_e32 v22, 0x143, v0
	v_mad_u64_u32 v[14:15], s[4:5], s12, v22, 0
	v_fmac_f32_e32 v12, v28, v49
	v_add_co_u32_e32 v9, vcc, v1, v9
	v_mov_b32_e32 v4, v15
	v_mad_u64_u32 v[22:23], s[4:5], s13, v22, v[4:5]
	v_add_u32_e32 v23, 0x44, v0
	v_mad_u64_u32 v[35:36], s[4:5], s12, v23, 0
	v_fma_f32 v20, v19, v51, -v45
	v_sub_f32_e32 v19, v34, v12
	v_fma_f32 v12, v41, 2.0, -v6
	v_fma_f32 v11, v70, 2.0, -v5
	v_addc_co_u32_e32 v10, vcc, v3, v10, vcc
	v_mov_b32_e32 v4, v36
	global_store_dwordx2 v[9:10], v[11:12], off
	v_mov_b32_e32 v15, v22
	v_mad_u64_u32 v[11:12], s[4:5], s13, v23, v[4:5]
	v_lshlrev_b64 v[9:10], 3, v[14:15]
	v_sub_f32_e32 v47, v76, v7
	v_add_co_u32_e32 v9, vcc, v1, v9
	v_addc_co_u32_e32 v10, vcc, v3, v10, vcc
	v_mov_b32_e32 v36, v11
	v_add_u32_e32 v11, 0x165, v0
	global_store_dwordx2 v[9:10], v[5:6], off
	v_mad_u64_u32 v[9:10], s[4:5], s12, v11, 0
	v_fma_f32 v7, v76, 2.0, -v47
	v_add_u32_e32 v14, 0x66, v0
	v_mov_b32_e32 v6, v10
	v_mad_u64_u32 v[10:11], s[4:5], s13, v11, v[6:7]
	v_mad_u64_u32 v[11:12], s[4:5], s12, v14, 0
	v_lshlrev_b64 v[4:5], 3, v[35:36]
	v_fma_f32 v25, v42, 2.0, -v17
	v_add_co_u32_e32 v4, vcc, v1, v4
	v_fma_f32 v24, v71, 2.0, -v16
	v_addc_co_u32_e32 v5, vcc, v3, v5, vcc
	v_mov_b32_e32 v6, v12
	global_store_dwordx2 v[4:5], v[24:25], off
	v_lshlrev_b64 v[4:5], 3, v[9:10]
	v_mad_u64_u32 v[9:10], s[4:5], s13, v14, v[6:7]
	v_add_co_u32_e32 v4, vcc, v1, v4
	v_addc_co_u32_e32 v5, vcc, v3, v5, vcc
	v_mov_b32_e32 v12, v9
	global_store_dwordx2 v[4:5], v[16:17], off
	v_lshlrev_b64 v[4:5], 3, v[11:12]
	v_add_u32_e32 v11, 0x187, v0
	v_mad_u64_u32 v[9:10], s[4:5], s12, v11, 0
	v_add_u32_e32 v14, 0x88, v0
	v_add_co_u32_e32 v4, vcc, v1, v4
	v_mov_b32_e32 v6, v10
	v_mad_u64_u32 v[10:11], s[4:5], s13, v11, v[6:7]
	v_mad_u64_u32 v[11:12], s[4:5], s12, v14, 0
	v_fma_f32 v51, v72, 2.0, -v31
	v_addc_co_u32_e32 v5, vcc, v3, v5, vcc
	v_mov_b32_e32 v6, v12
	global_store_dwordx2 v[4:5], v[51:52], off
	v_lshlrev_b64 v[4:5], 3, v[9:10]
	v_mad_u64_u32 v[9:10], s[4:5], s13, v14, v[6:7]
	v_add_co_u32_e32 v4, vcc, v1, v4
	v_addc_co_u32_e32 v5, vcc, v3, v5, vcc
	v_mov_b32_e32 v12, v9
	global_store_dwordx2 v[4:5], v[31:32], off
	v_lshlrev_b64 v[4:5], 3, v[11:12]
	v_add_u32_e32 v11, 0x1a9, v0
	v_mad_u64_u32 v[9:10], s[4:5], s12, v11, 0
	v_add_u32_e32 v14, 0xaa, v0
	v_add_co_u32_e32 v4, vcc, v1, v4
	v_mov_b32_e32 v6, v10
	v_mad_u64_u32 v[10:11], s[4:5], s13, v11, v[6:7]
	v_mad_u64_u32 v[11:12], s[4:5], s12, v14, 0
	v_fma_f32 v49, v73, 2.0, -v26
	v_addc_co_u32_e32 v5, vcc, v3, v5, vcc
	v_mov_b32_e32 v6, v12
	global_store_dwordx2 v[4:5], v[49:50], off
	v_lshlrev_b64 v[4:5], 3, v[9:10]
	v_mad_u64_u32 v[9:10], s[4:5], s13, v14, v[6:7]
	v_add_co_u32_e32 v4, vcc, v1, v4
	v_addc_co_u32_e32 v5, vcc, v3, v5, vcc
	v_mov_b32_e32 v12, v9
	global_store_dwordx2 v[4:5], v[26:27], off
	v_lshlrev_b64 v[4:5], 3, v[11:12]
	v_add_u32_e32 v11, 0x1cb, v0
	v_mad_u64_u32 v[9:10], s[4:5], s12, v11, 0
	v_add_u32_e32 v12, 0xcc, v0
	s_mov_b32 s3, 0xe2c4a689
	v_mul_hi_u32 v14, v12, s3
	v_mov_b32_e32 v6, v10
	s_movk_i32 s2, 0x121
	v_mad_u64_u32 v[10:11], s[4:5], s13, v11, v[6:7]
	v_lshrrev_b32_e32 v6, 8, v14
	v_mad_u32_u24 v14, v6, s2, v12
	v_mad_u64_u32 v[11:12], s[4:5], s12, v14, 0
	v_sub_f32_e32 v21, v33, v29
	v_sub_f32_e32 v20, v74, v20
	v_add_co_u32_e32 v4, vcc, v1, v4
	v_fma_f32 v29, v34, 2.0, -v19
	v_fma_f32 v34, v33, 2.0, -v21
	;; [unrolled: 1-line block ×3, first 2 shown]
	v_addc_co_u32_e32 v5, vcc, v3, v5, vcc
	v_mov_b32_e32 v6, v12
	global_store_dwordx2 v[4:5], v[33:34], off
	v_lshlrev_b64 v[4:5], 3, v[9:10]
	v_mad_u64_u32 v[9:10], s[4:5], s13, v14, v[6:7]
	v_add_co_u32_e32 v4, vcc, v1, v4
	v_addc_co_u32_e32 v5, vcc, v3, v5, vcc
	v_mov_b32_e32 v12, v9
	global_store_dwordx2 v[4:5], v[20:21], off
	v_lshlrev_b64 v[4:5], 3, v[11:12]
	v_add_u32_e32 v11, 0x121, v14
	v_mad_u64_u32 v[9:10], s[4:5], s12, v11, 0
	v_add_co_u32_e32 v4, vcc, v1, v4
	v_mov_b32_e32 v6, v10
	v_mad_u64_u32 v[10:11], s[4:5], s13, v11, v[6:7]
	v_add_u32_e32 v6, 0xee, v0
	v_mul_hi_u32 v11, v6, s3
	v_fma_f32 v28, v75, 2.0, -v18
	v_addc_co_u32_e32 v5, vcc, v3, v5, vcc
	global_store_dwordx2 v[4:5], v[28:29], off
	v_lshlrev_b64 v[4:5], 3, v[9:10]
	v_lshrrev_b32_e32 v9, 8, v11
	v_mad_u32_u24 v12, v9, s2, v6
	v_mad_u64_u32 v[9:10], s[2:3], s12, v12, 0
	v_add_u32_e32 v14, 0x121, v12
	v_add_co_u32_e32 v4, vcc, v1, v4
	v_mov_b32_e32 v6, v10
	v_mad_u64_u32 v[10:11], s[2:3], s13, v12, v[6:7]
	v_mad_u64_u32 v[11:12], s[2:3], s12, v14, 0
	v_addc_co_u32_e32 v5, vcc, v3, v5, vcc
	v_mov_b32_e32 v6, v12
	global_store_dwordx2 v[4:5], v[18:19], off
	v_lshlrev_b64 v[4:5], 3, v[9:10]
	v_mad_u64_u32 v[9:10], s[2:3], s13, v14, v[6:7]
	v_add_co_u32_e32 v4, vcc, v1, v4
	v_addc_co_u32_e32 v5, vcc, v3, v5, vcc
	v_mov_b32_e32 v12, v9
	global_store_dwordx2 v[4:5], v[7:8], off
	v_lshlrev_b64 v[4:5], 3, v[11:12]
	v_add_co_u32_e32 v4, vcc, v1, v4
	v_addc_co_u32_e32 v5, vcc, v3, v5, vcc
	global_store_dwordx2 v[4:5], v[47:48], off
	s_and_b64 exec, exec, s[0:1]
	s_cbranch_execz .LBB0_19
; %bb.18:
	v_mov_b32_e32 v14, v2
	v_lshlrev_b64 v[4:5], 3, v[13:14]
	v_mov_b32_e32 v2, s9
	v_add_co_u32_e32 v4, vcc, s8, v4
	v_addc_co_u32_e32 v5, vcc, v2, v5, vcc
	global_load_dwordx2 v[4:5], v[4:5], off offset:2176
	v_add_u32_e32 v10, 0x110, v0
	v_add_u32_e32 v11, 0x231, v0
	v_mad_u64_u32 v[6:7], s[0:1], s12, v10, 0
	v_mad_u64_u32 v[8:9], s[0:1], s12, v11, 0
	v_mov_b32_e32 v0, v7
	v_mov_b32_e32 v2, v9
	v_mad_u64_u32 v[9:10], s[0:1], s13, v10, v[0:1]
	v_mad_u64_u32 v[10:11], s[0:1], s13, v11, v[2:3]
	v_mov_b32_e32 v7, v9
	v_lshlrev_b64 v[6:7], 3, v[6:7]
	v_mov_b32_e32 v9, v10
	v_lshlrev_b64 v[8:9], 3, v[8:9]
	v_add_co_u32_e32 v6, vcc, v1, v6
	v_addc_co_u32_e32 v7, vcc, v3, v7, vcc
	v_add_co_u32_e32 v0, vcc, v1, v8
	v_addc_co_u32_e32 v1, vcc, v3, v9, vcc
	s_waitcnt vmcnt(0)
	v_mul_f32_e32 v2, v30, v5
	v_mul_f32_e32 v3, v68, v5
	v_fma_f32 v2, v68, v4, -v2
	v_fmac_f32_e32 v3, v30, v4
	v_sub_f32_e32 v2, v38, v2
	v_sub_f32_e32 v3, v39, v3
	v_fma_f32 v4, v38, 2.0, -v2
	v_fma_f32 v5, v39, 2.0, -v3
	global_store_dwordx2 v[6:7], v[4:5], off
	global_store_dwordx2 v[0:1], v[2:3], off
.LBB0_19:
	s_endpgm
	.section	.rodata,"a",@progbits
	.p2align	6, 0x0
	.amdhsa_kernel fft_rtc_fwd_len578_factors_17_17_2_wgs_238_tpt_34_halfLds_sp_ip_CI_sbrr_dirReg
		.amdhsa_group_segment_fixed_size 0
		.amdhsa_private_segment_fixed_size 0
		.amdhsa_kernarg_size 88
		.amdhsa_user_sgpr_count 6
		.amdhsa_user_sgpr_private_segment_buffer 1
		.amdhsa_user_sgpr_dispatch_ptr 0
		.amdhsa_user_sgpr_queue_ptr 0
		.amdhsa_user_sgpr_kernarg_segment_ptr 1
		.amdhsa_user_sgpr_dispatch_id 0
		.amdhsa_user_sgpr_flat_scratch_init 0
		.amdhsa_user_sgpr_private_segment_size 0
		.amdhsa_uses_dynamic_stack 0
		.amdhsa_system_sgpr_private_segment_wavefront_offset 0
		.amdhsa_system_sgpr_workgroup_id_x 1
		.amdhsa_system_sgpr_workgroup_id_y 0
		.amdhsa_system_sgpr_workgroup_id_z 0
		.amdhsa_system_sgpr_workgroup_info 0
		.amdhsa_system_vgpr_workitem_id 0
		.amdhsa_next_free_vgpr 98
		.amdhsa_next_free_sgpr 24
		.amdhsa_reserve_vcc 1
		.amdhsa_reserve_flat_scratch 0
		.amdhsa_float_round_mode_32 0
		.amdhsa_float_round_mode_16_64 0
		.amdhsa_float_denorm_mode_32 3
		.amdhsa_float_denorm_mode_16_64 3
		.amdhsa_dx10_clamp 1
		.amdhsa_ieee_mode 1
		.amdhsa_fp16_overflow 0
		.amdhsa_exception_fp_ieee_invalid_op 0
		.amdhsa_exception_fp_denorm_src 0
		.amdhsa_exception_fp_ieee_div_zero 0
		.amdhsa_exception_fp_ieee_overflow 0
		.amdhsa_exception_fp_ieee_underflow 0
		.amdhsa_exception_fp_ieee_inexact 0
		.amdhsa_exception_int_div_zero 0
	.end_amdhsa_kernel
	.text
.Lfunc_end0:
	.size	fft_rtc_fwd_len578_factors_17_17_2_wgs_238_tpt_34_halfLds_sp_ip_CI_sbrr_dirReg, .Lfunc_end0-fft_rtc_fwd_len578_factors_17_17_2_wgs_238_tpt_34_halfLds_sp_ip_CI_sbrr_dirReg
                                        ; -- End function
	.section	.AMDGPU.csdata,"",@progbits
; Kernel info:
; codeLenInByte = 15108
; NumSgprs: 28
; NumVgprs: 98
; ScratchSize: 0
; MemoryBound: 0
; FloatMode: 240
; IeeeMode: 1
; LDSByteSize: 0 bytes/workgroup (compile time only)
; SGPRBlocks: 3
; VGPRBlocks: 24
; NumSGPRsForWavesPerEU: 28
; NumVGPRsForWavesPerEU: 98
; Occupancy: 2
; WaveLimiterHint : 1
; COMPUTE_PGM_RSRC2:SCRATCH_EN: 0
; COMPUTE_PGM_RSRC2:USER_SGPR: 6
; COMPUTE_PGM_RSRC2:TRAP_HANDLER: 0
; COMPUTE_PGM_RSRC2:TGID_X_EN: 1
; COMPUTE_PGM_RSRC2:TGID_Y_EN: 0
; COMPUTE_PGM_RSRC2:TGID_Z_EN: 0
; COMPUTE_PGM_RSRC2:TIDIG_COMP_CNT: 0
	.type	__hip_cuid_62a94c6dfc2c9ecb,@object ; @__hip_cuid_62a94c6dfc2c9ecb
	.section	.bss,"aw",@nobits
	.globl	__hip_cuid_62a94c6dfc2c9ecb
__hip_cuid_62a94c6dfc2c9ecb:
	.byte	0                               ; 0x0
	.size	__hip_cuid_62a94c6dfc2c9ecb, 1

	.ident	"AMD clang version 19.0.0git (https://github.com/RadeonOpenCompute/llvm-project roc-6.4.0 25133 c7fe45cf4b819c5991fe208aaa96edf142730f1d)"
	.section	".note.GNU-stack","",@progbits
	.addrsig
	.addrsig_sym __hip_cuid_62a94c6dfc2c9ecb
	.amdgpu_metadata
---
amdhsa.kernels:
  - .args:
      - .actual_access:  read_only
        .address_space:  global
        .offset:         0
        .size:           8
        .value_kind:     global_buffer
      - .offset:         8
        .size:           8
        .value_kind:     by_value
      - .actual_access:  read_only
        .address_space:  global
        .offset:         16
        .size:           8
        .value_kind:     global_buffer
      - .actual_access:  read_only
        .address_space:  global
        .offset:         24
        .size:           8
        .value_kind:     global_buffer
      - .offset:         32
        .size:           8
        .value_kind:     by_value
      - .actual_access:  read_only
        .address_space:  global
        .offset:         40
        .size:           8
        .value_kind:     global_buffer
      - .actual_access:  read_only
        .address_space:  global
        .offset:         48
        .size:           8
        .value_kind:     global_buffer
      - .offset:         56
        .size:           4
        .value_kind:     by_value
      - .actual_access:  read_only
        .address_space:  global
        .offset:         64
        .size:           8
        .value_kind:     global_buffer
      - .actual_access:  read_only
        .address_space:  global
        .offset:         72
        .size:           8
        .value_kind:     global_buffer
      - .address_space:  global
        .offset:         80
        .size:           8
        .value_kind:     global_buffer
    .group_segment_fixed_size: 0
    .kernarg_segment_align: 8
    .kernarg_segment_size: 88
    .language:       OpenCL C
    .language_version:
      - 2
      - 0
    .max_flat_workgroup_size: 238
    .name:           fft_rtc_fwd_len578_factors_17_17_2_wgs_238_tpt_34_halfLds_sp_ip_CI_sbrr_dirReg
    .private_segment_fixed_size: 0
    .sgpr_count:     28
    .sgpr_spill_count: 0
    .symbol:         fft_rtc_fwd_len578_factors_17_17_2_wgs_238_tpt_34_halfLds_sp_ip_CI_sbrr_dirReg.kd
    .uniform_work_group_size: 1
    .uses_dynamic_stack: false
    .vgpr_count:     98
    .vgpr_spill_count: 0
    .wavefront_size: 64
amdhsa.target:   amdgcn-amd-amdhsa--gfx906
amdhsa.version:
  - 1
  - 2
...

	.end_amdgpu_metadata
